;; amdgpu-corpus repo=zjin-lcf/HeCBench kind=compiled arch=gfx1250 opt=O3
	.amdgcn_target "amdgcn-amd-amdhsa--gfx1250"
	.amdhsa_code_object_version 6
	.text
	.protected	_Z19apply_step_functionPfS_i ; -- Begin function _Z19apply_step_functionPfS_i
	.globl	_Z19apply_step_functionPfS_i
	.p2align	8
	.type	_Z19apply_step_functionPfS_i,@function
_Z19apply_step_functionPfS_i:           ; @_Z19apply_step_functionPfS_i
; %bb.0:
	s_clause 0x1
	s_load_b32 s2, s[0:1], 0x24
	s_load_b32 s3, s[0:1], 0x18
	s_bfe_u32 s4, ttmp6, 0x4000c
	s_load_b32 s5, s[0:1], 0x10
	s_add_co_i32 s4, s4, 1
	s_and_b32 s6, ttmp6, 15
	s_mul_i32 s4, ttmp9, s4
	s_getreg_b32 s7, hwreg(HW_REG_IB_STS2, 6, 4)
	s_add_co_i32 s6, s6, s4
	s_wait_kmcnt 0x0
	s_and_b32 s2, s2, 0xffff
	s_cmp_eq_u32 s7, 0
	s_mul_i32 s3, s3, s2
	s_cselect_b32 s4, ttmp9, s6
	s_abs_i32 s6, s3
	v_mad_u32 v0, s4, s2, v0
	s_cvt_f32_u32 s2, s6
	s_sub_co_i32 s4, 0, s6
	s_ashr_i32 s3, s3, 31
	s_delay_alu instid0(SALU_CYCLE_1) | instskip(NEXT) | instid1(VALU_DEP_1)
	v_rcp_iflag_f32_e32 v1, s2
	v_mul_lo_u32 v0, v0, s5
	s_delay_alu instid0(TRANS32_DEP_1) | instskip(SKIP_1) | instid1(SALU_CYCLE_3)
	v_readfirstlane_b32 s2, v1
	s_mul_f32 s2, s2, 0x4f7ffffe
	s_cvt_u32_f32 s2, s2
	v_dual_add_nc_u32 v1, s5, v0 :: v_dual_sub_nc_u32 v2, 0, v0
	s_delay_alu instid0(SALU_CYCLE_2) | instskip(NEXT) | instid1(VALU_DEP_1)
	s_mul_i32 s4, s4, s2
	v_dual_sub_nc_u32 v3, 0, v1 :: v_dual_max_i32 v2, v0, v2
	s_mul_hi_u32 s4, s2, s4
	v_ashrrev_i32_e32 v0, 31, v0
	s_add_co_i32 s2, s2, s4
	s_delay_alu instid0(VALU_DEP_2) | instskip(SKIP_2) | instid1(VALU_DEP_3)
	v_max_i32_e32 v3, v1, v3
	v_mul_hi_u32 v4, v2, s2
	v_ashrrev_i32_e32 v1, 31, v1
	v_mul_hi_u32 v5, v3, s2
	s_delay_alu instid0(VALU_DEP_3) | instskip(NEXT) | instid1(VALU_DEP_2)
	v_mul_lo_u32 v6, v4, s6
	v_mul_lo_u32 v7, v5, s6
	s_delay_alu instid0(VALU_DEP_2) | instskip(NEXT) | instid1(VALU_DEP_2)
	v_dual_sub_nc_u32 v2, v2, v6 :: v_dual_bitop2_b32 v0, s3, v0 bitop3:0x14
	v_dual_add_nc_u32 v6, 1, v4 :: v_dual_sub_nc_u32 v3, v3, v7
	s_delay_alu instid0(VALU_DEP_2) | instskip(SKIP_1) | instid1(VALU_DEP_3)
	v_cmp_le_u32_e32 vcc_lo, s6, v2
	v_add_nc_u32_e32 v7, 1, v5
	v_subrev_nc_u32_e32 v8, s6, v3
	s_delay_alu instid0(VALU_DEP_4) | instskip(SKIP_2) | instid1(VALU_DEP_2)
	v_cndmask_b32_e32 v4, v4, v6, vcc_lo
	v_subrev_nc_u32_e32 v6, s6, v2
	v_cmp_le_u32_e64 s2, s6, v3
	v_dual_cndmask_b32 v2, v2, v6, vcc_lo :: v_dual_add_nc_u32 v6, 1, v4
	s_delay_alu instid0(VALU_DEP_2) | instskip(SKIP_1) | instid1(VALU_DEP_2)
	v_dual_cndmask_b32 v5, v5, v7, s2 :: v_dual_cndmask_b32 v3, v3, v8, s2
	s_mov_b32 s2, 0
	v_cmp_le_u32_e32 vcc_lo, s6, v2
	v_xor_b32_e32 v1, s3, v1
	s_delay_alu instid0(VALU_DEP_3) | instskip(SKIP_3) | instid1(VALU_DEP_2)
	v_add_nc_u32_e32 v7, 1, v5
	s_mov_b32 s3, exec_lo
	v_cndmask_b32_e32 v2, v4, v6, vcc_lo
	v_cmp_le_u32_e32 vcc_lo, s6, v3
	v_dual_cndmask_b32 v3, v5, v7, vcc_lo :: v_dual_bitop2_b32 v2, v2, v0 bitop3:0x14
	s_delay_alu instid0(VALU_DEP_1) | instskip(NEXT) | instid1(VALU_DEP_1)
	v_dual_sub_nc_u32 v0, v2, v0 :: v_dual_bitop2_b32 v3, v3, v1 bitop3:0x14
	v_sub_nc_u32_e32 v6, v3, v1
	s_delay_alu instid0(VALU_DEP_1)
	v_cmpx_lt_i32_e64 v0, v6
	s_cbranch_execz .LBB0_3
; %bb.1:
	s_load_b128 s[4:7], s[0:1], 0x0
	v_ashrrev_i32_e32 v1, 31, v0
	s_delay_alu instid0(VALU_DEP_1) | instskip(SKIP_1) | instid1(VALU_DEP_1)
	v_lshlrev_b64_e32 v[4:5], 2, v[0:1]
	s_wait_kmcnt 0x0
	v_add_nc_u64_e32 v[2:3], s[4:5], v[4:5]
	v_add_nc_u64_e32 v[4:5], s[6:7], v[4:5]
.LBB0_2:                                ; =>This Inner Loop Header: Depth=1
	global_load_b32 v1, v[2:3], off
	s_wait_xcnt 0x0
	v_add_nc_u64_e32 v[2:3], 4, v[2:3]
	s_wait_loadcnt 0x0
	v_dual_mul_f32 v7, 0xbfb8aa3b, v1 :: v_dual_add_nc_u32 v0, 1, v0
	v_cmp_nlt_f32_e32 vcc_lo, 0x42ce8ed0, v1
	s_delay_alu instid0(VALU_DEP_2) | instskip(SKIP_1) | instid1(VALU_DEP_2)
	v_rndne_f32_e32 v8, v7
	v_fma_f32 v9, 0xbfb8aa3b, v1, -v7
	v_sub_f32_e32 v7, v7, v8
	s_delay_alu instid0(VALU_DEP_2) | instskip(SKIP_1) | instid1(VALU_DEP_2)
	v_fmac_f32_e32 v9, 0xb2a5705f, v1
	v_cvt_i32_f32_e32 v8, v8
	v_add_f32_e32 v7, v7, v9
	s_delay_alu instid0(VALU_DEP_1) | instskip(SKIP_1) | instid1(TRANS32_DEP_1)
	v_exp_f32_e32 v7, v7
	v_nop
	v_ldexp_f32 v7, v7, v8
	s_delay_alu instid0(VALU_DEP_1) | instskip(SKIP_1) | instid1(VALU_DEP_2)
	v_cndmask_b32_e32 v7, 0, v7, vcc_lo
	v_cmp_ngt_f32_e32 vcc_lo, 0xc2b17218, v1
	v_cndmask_b32_e32 v1, 0x7f800000, v7, vcc_lo
	s_delay_alu instid0(VALU_DEP_1) | instskip(NEXT) | instid1(VALU_DEP_1)
	v_add_f32_e32 v1, 1.0, v1
	v_div_scale_f32 v7, null, v1, v1, 1.0
	v_div_scale_f32 v10, vcc_lo, 1.0, v1, 1.0
	s_delay_alu instid0(VALU_DEP_2) | instskip(SKIP_1) | instid1(TRANS32_DEP_1)
	v_rcp_f32_e32 v8, v7
	v_nop
	v_fma_f32 v9, -v7, v8, 1.0
	s_delay_alu instid0(VALU_DEP_1) | instskip(NEXT) | instid1(VALU_DEP_1)
	v_fmac_f32_e32 v8, v9, v8
	v_mul_f32_e32 v9, v10, v8
	s_delay_alu instid0(VALU_DEP_1) | instskip(NEXT) | instid1(VALU_DEP_1)
	v_fma_f32 v11, -v7, v9, v10
	v_fmac_f32_e32 v9, v11, v8
	s_delay_alu instid0(VALU_DEP_1) | instskip(NEXT) | instid1(VALU_DEP_1)
	v_fma_f32 v7, -v7, v9, v10
	v_div_fmas_f32 v7, v7, v8, v9
	v_cmp_ge_i32_e32 vcc_lo, v0, v6
	s_delay_alu instid0(VALU_DEP_2)
	v_div_fixup_f32 v1, v7, v1, 1.0
	s_or_b32 s2, vcc_lo, s2
	global_store_b32 v[4:5], v1, off
	s_wait_xcnt 0x0
	v_add_nc_u64_e32 v[4:5], 4, v[4:5]
	s_and_not1_b32 exec_lo, exec_lo, s2
	s_cbranch_execnz .LBB0_2
.LBB0_3:
	s_endpgm
	.section	.rodata,"a",@progbits
	.p2align	6, 0x0
	.amdhsa_kernel _Z19apply_step_functionPfS_i
		.amdhsa_group_segment_fixed_size 0
		.amdhsa_private_segment_fixed_size 0
		.amdhsa_kernarg_size 280
		.amdhsa_user_sgpr_count 2
		.amdhsa_user_sgpr_dispatch_ptr 0
		.amdhsa_user_sgpr_queue_ptr 0
		.amdhsa_user_sgpr_kernarg_segment_ptr 1
		.amdhsa_user_sgpr_dispatch_id 0
		.amdhsa_user_sgpr_kernarg_preload_length 0
		.amdhsa_user_sgpr_kernarg_preload_offset 0
		.amdhsa_user_sgpr_private_segment_size 0
		.amdhsa_wavefront_size32 1
		.amdhsa_uses_dynamic_stack 0
		.amdhsa_enable_private_segment 0
		.amdhsa_system_sgpr_workgroup_id_x 1
		.amdhsa_system_sgpr_workgroup_id_y 0
		.amdhsa_system_sgpr_workgroup_id_z 0
		.amdhsa_system_sgpr_workgroup_info 0
		.amdhsa_system_vgpr_workitem_id 0
		.amdhsa_next_free_vgpr 12
		.amdhsa_next_free_sgpr 8
		.amdhsa_named_barrier_count 0
		.amdhsa_reserve_vcc 1
		.amdhsa_float_round_mode_32 0
		.amdhsa_float_round_mode_16_64 0
		.amdhsa_float_denorm_mode_32 3
		.amdhsa_float_denorm_mode_16_64 3
		.amdhsa_fp16_overflow 0
		.amdhsa_memory_ordered 1
		.amdhsa_forward_progress 1
		.amdhsa_inst_pref_size 6
		.amdhsa_round_robin_scheduling 0
		.amdhsa_exception_fp_ieee_invalid_op 0
		.amdhsa_exception_fp_denorm_src 0
		.amdhsa_exception_fp_ieee_div_zero 0
		.amdhsa_exception_fp_ieee_overflow 0
		.amdhsa_exception_fp_ieee_underflow 0
		.amdhsa_exception_fp_ieee_inexact 0
		.amdhsa_exception_int_div_zero 0
	.end_amdhsa_kernel
	.text
.Lfunc_end0:
	.size	_Z19apply_step_functionPfS_i, .Lfunc_end0-_Z19apply_step_functionPfS_i
                                        ; -- End function
	.set _Z19apply_step_functionPfS_i.num_vgpr, 12
	.set _Z19apply_step_functionPfS_i.num_agpr, 0
	.set _Z19apply_step_functionPfS_i.numbered_sgpr, 8
	.set _Z19apply_step_functionPfS_i.num_named_barrier, 0
	.set _Z19apply_step_functionPfS_i.private_seg_size, 0
	.set _Z19apply_step_functionPfS_i.uses_vcc, 1
	.set _Z19apply_step_functionPfS_i.uses_flat_scratch, 0
	.set _Z19apply_step_functionPfS_i.has_dyn_sized_stack, 0
	.set _Z19apply_step_functionPfS_i.has_recursion, 0
	.set _Z19apply_step_functionPfS_i.has_indirect_call, 0
	.section	.AMDGPU.csdata,"",@progbits
; Kernel info:
; codeLenInByte = 712
; TotalNumSgprs: 10
; NumVgprs: 12
; ScratchSize: 0
; MemoryBound: 0
; FloatMode: 240
; IeeeMode: 1
; LDSByteSize: 0 bytes/workgroup (compile time only)
; SGPRBlocks: 0
; VGPRBlocks: 0
; NumSGPRsForWavesPerEU: 10
; NumVGPRsForWavesPerEU: 12
; NamedBarCnt: 0
; Occupancy: 16
; WaveLimiterHint : 0
; COMPUTE_PGM_RSRC2:SCRATCH_EN: 0
; COMPUTE_PGM_RSRC2:USER_SGPR: 2
; COMPUTE_PGM_RSRC2:TRAP_HANDLER: 0
; COMPUTE_PGM_RSRC2:TGID_X_EN: 1
; COMPUTE_PGM_RSRC2:TGID_Y_EN: 0
; COMPUTE_PGM_RSRC2:TGID_Z_EN: 0
; COMPUTE_PGM_RSRC2:TIDIG_COMP_CNT: 0
	.text
	.protected	_Z9makeErrorPfS_ji      ; -- Begin function _Z9makeErrorPfS_ji
	.globl	_Z9makeErrorPfS_ji
	.p2align	8
	.type	_Z9makeErrorPfS_ji,@function
_Z9makeErrorPfS_ji:                     ; @_Z9makeErrorPfS_ji
; %bb.0:
	s_clause 0x1
	s_load_b32 s2, s[0:1], 0x24
	s_load_b96 s[4:6], s[0:1], 0x10
	s_bfe_u32 s3, ttmp6, 0x4000c
	s_and_b32 s7, ttmp6, 15
	s_add_co_i32 s3, s3, 1
	s_getreg_b32 s8, hwreg(HW_REG_IB_STS2, 6, 4)
	s_mul_i32 s3, ttmp9, s3
	s_delay_alu instid0(SALU_CYCLE_1)
	s_add_co_i32 s7, s7, s3
	s_wait_kmcnt 0x0
	s_and_b32 s2, s2, 0xffff
	s_cmp_eq_u32 s8, 0
	s_mul_i32 s3, s6, s2
	s_cselect_b32 s6, ttmp9, s7
	s_abs_i32 s7, s3
	v_mad_u32 v0, s6, s2, v0
	s_cvt_f32_u32 s2, s7
	s_ashr_i32 s3, s3, 31
	s_delay_alu instid0(SALU_CYCLE_2) | instskip(NEXT) | instid1(VALU_DEP_1)
	v_rcp_iflag_f32_e32 v1, s2
	v_mul_lo_u32 v0, v0, s5
	s_delay_alu instid0(TRANS32_DEP_1) | instskip(SKIP_1) | instid1(SALU_CYCLE_3)
	v_readfirstlane_b32 s2, v1
	s_mul_f32 s2, s2, 0x4f7ffffe
	s_cvt_u32_f32 s2, s2
	v_dual_add_nc_u32 v1, s5, v0 :: v_dual_sub_nc_u32 v2, 0, v0
	s_sub_co_i32 s5, 0, s7
	s_delay_alu instid0(SALU_CYCLE_1) | instskip(NEXT) | instid1(VALU_DEP_1)
	s_mul_i32 s5, s5, s2
	v_dual_sub_nc_u32 v3, 0, v1 :: v_dual_max_i32 v2, v0, v2
	s_mul_hi_u32 s5, s2, s5
	v_ashrrev_i32_e32 v0, 31, v0
	s_add_co_i32 s2, s2, s5
	s_delay_alu instid0(VALU_DEP_2) | instskip(SKIP_2) | instid1(VALU_DEP_3)
	v_max_i32_e32 v3, v1, v3
	v_mul_hi_u32 v4, v2, s2
	v_ashrrev_i32_e32 v1, 31, v1
	v_mul_hi_u32 v5, v3, s2
	s_delay_alu instid0(VALU_DEP_3) | instskip(NEXT) | instid1(VALU_DEP_2)
	v_mul_lo_u32 v6, v4, s7
	v_mul_lo_u32 v7, v5, s7
	s_delay_alu instid0(VALU_DEP_2) | instskip(NEXT) | instid1(VALU_DEP_2)
	v_dual_sub_nc_u32 v2, v2, v6 :: v_dual_bitop2_b32 v0, s3, v0 bitop3:0x14
	v_dual_add_nc_u32 v6, 1, v4 :: v_dual_sub_nc_u32 v3, v3, v7
	s_delay_alu instid0(VALU_DEP_2) | instskip(SKIP_1) | instid1(VALU_DEP_3)
	v_cmp_le_u32_e32 vcc_lo, s7, v2
	v_add_nc_u32_e32 v7, 1, v5
	v_subrev_nc_u32_e32 v8, s7, v3
	s_delay_alu instid0(VALU_DEP_4) | instskip(SKIP_2) | instid1(VALU_DEP_2)
	v_cndmask_b32_e32 v4, v4, v6, vcc_lo
	v_subrev_nc_u32_e32 v6, s7, v2
	v_cmp_le_u32_e64 s2, s7, v3
	v_dual_cndmask_b32 v2, v2, v6, vcc_lo :: v_dual_add_nc_u32 v6, 1, v4
	s_delay_alu instid0(VALU_DEP_2) | instskip(SKIP_1) | instid1(VALU_DEP_2)
	v_dual_cndmask_b32 v5, v5, v7, s2 :: v_dual_cndmask_b32 v3, v3, v8, s2
	s_mov_b32 s2, 0
	v_cmp_le_u32_e32 vcc_lo, s7, v2
	v_xor_b32_e32 v1, s3, v1
	s_delay_alu instid0(VALU_DEP_3) | instskip(SKIP_3) | instid1(VALU_DEP_2)
	v_add_nc_u32_e32 v7, 1, v5
	s_mov_b32 s3, exec_lo
	v_cndmask_b32_e32 v2, v4, v6, vcc_lo
	v_cmp_le_u32_e32 vcc_lo, s7, v3
	v_dual_cndmask_b32 v3, v5, v7, vcc_lo :: v_dual_bitop2_b32 v2, v2, v0 bitop3:0x14
	s_delay_alu instid0(VALU_DEP_1) | instskip(NEXT) | instid1(VALU_DEP_1)
	v_dual_sub_nc_u32 v0, v2, v0 :: v_dual_bitop2_b32 v3, v3, v1 bitop3:0x14
	v_sub_nc_u32_e32 v6, v3, v1
	s_delay_alu instid0(VALU_DEP_1)
	v_cmpx_lt_i32_e64 v0, v6
	s_cbranch_execz .LBB1_3
; %bb.1:
	s_load_b128 s[8:11], s[0:1], 0x0
	v_ashrrev_i32_e32 v1, 31, v0
	s_delay_alu instid0(VALU_DEP_1) | instskip(SKIP_1) | instid1(VALU_DEP_1)
	v_lshlrev_b64_e32 v[4:5], 2, v[0:1]
	s_wait_kmcnt 0x0
	v_add_nc_u64_e32 v[2:3], s[10:11], v[4:5]
	v_add_nc_u64_e32 v[4:5], s[8:9], v[4:5]
.LBB1_2:                                ; =>This Inner Loop Header: Depth=1
	global_load_b32 v1, v[2:3], off
	v_cmp_eq_u32_e32 vcc_lo, s4, v0
	s_wait_xcnt 0x0
	v_add_nc_u64_e32 v[2:3], 4, v[2:3]
	v_cndmask_b32_e64 v7, 0, 1.0, vcc_lo
	s_wait_loadcnt 0x0
	s_delay_alu instid0(VALU_DEP_1) | instskip(NEXT) | instid1(VALU_DEP_1)
	v_dual_sub_f32 v1, v7, v1 :: v_dual_add_nc_u32 v0, 1, v0
	v_cmp_ge_i32_e32 vcc_lo, v0, v6
	global_store_b32 v[4:5], v1, off
	s_wait_xcnt 0x0
	v_add_nc_u64_e32 v[4:5], 4, v[4:5]
	s_or_b32 s2, vcc_lo, s2
	s_delay_alu instid0(SALU_CYCLE_1)
	s_and_not1_b32 exec_lo, exec_lo, s2
	s_cbranch_execnz .LBB1_2
.LBB1_3:
	s_endpgm
	.section	.rodata,"a",@progbits
	.p2align	6, 0x0
	.amdhsa_kernel _Z9makeErrorPfS_ji
		.amdhsa_group_segment_fixed_size 0
		.amdhsa_private_segment_fixed_size 0
		.amdhsa_kernarg_size 280
		.amdhsa_user_sgpr_count 2
		.amdhsa_user_sgpr_dispatch_ptr 0
		.amdhsa_user_sgpr_queue_ptr 0
		.amdhsa_user_sgpr_kernarg_segment_ptr 1
		.amdhsa_user_sgpr_dispatch_id 0
		.amdhsa_user_sgpr_kernarg_preload_length 0
		.amdhsa_user_sgpr_kernarg_preload_offset 0
		.amdhsa_user_sgpr_private_segment_size 0
		.amdhsa_wavefront_size32 1
		.amdhsa_uses_dynamic_stack 0
		.amdhsa_enable_private_segment 0
		.amdhsa_system_sgpr_workgroup_id_x 1
		.amdhsa_system_sgpr_workgroup_id_y 0
		.amdhsa_system_sgpr_workgroup_id_z 0
		.amdhsa_system_sgpr_workgroup_info 0
		.amdhsa_system_vgpr_workitem_id 0
		.amdhsa_next_free_vgpr 9
		.amdhsa_next_free_sgpr 12
		.amdhsa_named_barrier_count 0
		.amdhsa_reserve_vcc 1
		.amdhsa_float_round_mode_32 0
		.amdhsa_float_round_mode_16_64 0
		.amdhsa_float_denorm_mode_32 3
		.amdhsa_float_denorm_mode_16_64 3
		.amdhsa_fp16_overflow 0
		.amdhsa_memory_ordered 1
		.amdhsa_forward_progress 1
		.amdhsa_inst_pref_size 5
		.amdhsa_round_robin_scheduling 0
		.amdhsa_exception_fp_ieee_invalid_op 0
		.amdhsa_exception_fp_denorm_src 0
		.amdhsa_exception_fp_ieee_div_zero 0
		.amdhsa_exception_fp_ieee_overflow 0
		.amdhsa_exception_fp_ieee_underflow 0
		.amdhsa_exception_fp_ieee_inexact 0
		.amdhsa_exception_int_div_zero 0
	.end_amdhsa_kernel
	.text
.Lfunc_end1:
	.size	_Z9makeErrorPfS_ji, .Lfunc_end1-_Z9makeErrorPfS_ji
                                        ; -- End function
	.set _Z9makeErrorPfS_ji.num_vgpr, 9
	.set _Z9makeErrorPfS_ji.num_agpr, 0
	.set _Z9makeErrorPfS_ji.numbered_sgpr, 12
	.set _Z9makeErrorPfS_ji.num_named_barrier, 0
	.set _Z9makeErrorPfS_ji.private_seg_size, 0
	.set _Z9makeErrorPfS_ji.uses_vcc, 1
	.set _Z9makeErrorPfS_ji.uses_flat_scratch, 0
	.set _Z9makeErrorPfS_ji.has_dyn_sized_stack, 0
	.set _Z9makeErrorPfS_ji.has_recursion, 0
	.set _Z9makeErrorPfS_ji.has_indirect_call, 0
	.section	.AMDGPU.csdata,"",@progbits
; Kernel info:
; codeLenInByte = 524
; TotalNumSgprs: 14
; NumVgprs: 9
; ScratchSize: 0
; MemoryBound: 0
; FloatMode: 240
; IeeeMode: 1
; LDSByteSize: 0 bytes/workgroup (compile time only)
; SGPRBlocks: 0
; VGPRBlocks: 0
; NumSGPRsForWavesPerEU: 14
; NumVGPRsForWavesPerEU: 9
; NamedBarCnt: 0
; Occupancy: 16
; WaveLimiterHint : 0
; COMPUTE_PGM_RSRC2:SCRATCH_EN: 0
; COMPUTE_PGM_RSRC2:USER_SGPR: 2
; COMPUTE_PGM_RSRC2:TRAP_HANDLER: 0
; COMPUTE_PGM_RSRC2:TGID_X_EN: 1
; COMPUTE_PGM_RSRC2:TGID_Y_EN: 0
; COMPUTE_PGM_RSRC2:TGID_Z_EN: 0
; COMPUTE_PGM_RSRC2:TIDIG_COMP_CNT: 0
	.text
	.protected	_Z10apply_gradPfS_i     ; -- Begin function _Z10apply_gradPfS_i
	.globl	_Z10apply_gradPfS_i
	.p2align	8
	.type	_Z10apply_gradPfS_i,@function
_Z10apply_gradPfS_i:                    ; @_Z10apply_gradPfS_i
; %bb.0:
	s_clause 0x1
	s_load_b32 s2, s[0:1], 0x24
	s_load_b32 s3, s[0:1], 0x18
	s_bfe_u32 s4, ttmp6, 0x4000c
	s_load_b32 s5, s[0:1], 0x10
	s_add_co_i32 s4, s4, 1
	s_and_b32 s6, ttmp6, 15
	s_mul_i32 s4, ttmp9, s4
	s_getreg_b32 s7, hwreg(HW_REG_IB_STS2, 6, 4)
	s_add_co_i32 s6, s6, s4
	s_wait_kmcnt 0x0
	s_and_b32 s2, s2, 0xffff
	s_cmp_eq_u32 s7, 0
	s_mul_i32 s3, s3, s2
	s_cselect_b32 s4, ttmp9, s6
	s_abs_i32 s6, s3
	v_mad_u32 v0, s4, s2, v0
	s_cvt_f32_u32 s2, s6
	s_sub_co_i32 s4, 0, s6
	s_ashr_i32 s3, s3, 31
	s_delay_alu instid0(SALU_CYCLE_1) | instskip(NEXT) | instid1(VALU_DEP_1)
	v_rcp_iflag_f32_e32 v1, s2
	v_mul_lo_u32 v0, v0, s5
	s_delay_alu instid0(TRANS32_DEP_1) | instskip(SKIP_1) | instid1(SALU_CYCLE_3)
	v_readfirstlane_b32 s2, v1
	s_mul_f32 s2, s2, 0x4f7ffffe
	s_cvt_u32_f32 s2, s2
	v_dual_add_nc_u32 v1, s5, v0 :: v_dual_sub_nc_u32 v2, 0, v0
	s_delay_alu instid0(SALU_CYCLE_2) | instskip(NEXT) | instid1(VALU_DEP_1)
	s_mul_i32 s4, s4, s2
	v_dual_sub_nc_u32 v3, 0, v1 :: v_dual_max_i32 v2, v0, v2
	s_mul_hi_u32 s4, s2, s4
	v_ashrrev_i32_e32 v0, 31, v0
	s_add_co_i32 s2, s2, s4
	s_delay_alu instid0(VALU_DEP_2) | instskip(SKIP_2) | instid1(VALU_DEP_3)
	v_max_i32_e32 v3, v1, v3
	v_mul_hi_u32 v4, v2, s2
	v_ashrrev_i32_e32 v1, 31, v1
	v_mul_hi_u32 v5, v3, s2
	s_delay_alu instid0(VALU_DEP_3) | instskip(NEXT) | instid1(VALU_DEP_2)
	v_mul_lo_u32 v6, v4, s6
	v_mul_lo_u32 v7, v5, s6
	s_delay_alu instid0(VALU_DEP_2) | instskip(NEXT) | instid1(VALU_DEP_2)
	v_dual_sub_nc_u32 v2, v2, v6 :: v_dual_bitop2_b32 v0, s3, v0 bitop3:0x14
	v_dual_add_nc_u32 v6, 1, v4 :: v_dual_sub_nc_u32 v3, v3, v7
	s_delay_alu instid0(VALU_DEP_2) | instskip(SKIP_1) | instid1(VALU_DEP_3)
	v_cmp_le_u32_e32 vcc_lo, s6, v2
	v_add_nc_u32_e32 v7, 1, v5
	v_subrev_nc_u32_e32 v8, s6, v3
	s_delay_alu instid0(VALU_DEP_4) | instskip(SKIP_2) | instid1(VALU_DEP_2)
	v_cndmask_b32_e32 v4, v4, v6, vcc_lo
	v_subrev_nc_u32_e32 v6, s6, v2
	v_cmp_le_u32_e64 s2, s6, v3
	v_dual_cndmask_b32 v2, v2, v6, vcc_lo :: v_dual_add_nc_u32 v6, 1, v4
	s_delay_alu instid0(VALU_DEP_2) | instskip(SKIP_1) | instid1(VALU_DEP_2)
	v_dual_cndmask_b32 v5, v5, v7, s2 :: v_dual_cndmask_b32 v3, v3, v8, s2
	s_mov_b32 s2, 0
	v_cmp_le_u32_e32 vcc_lo, s6, v2
	v_xor_b32_e32 v1, s3, v1
	s_delay_alu instid0(VALU_DEP_3) | instskip(SKIP_3) | instid1(VALU_DEP_2)
	v_add_nc_u32_e32 v7, 1, v5
	s_mov_b32 s3, exec_lo
	v_cndmask_b32_e32 v2, v4, v6, vcc_lo
	v_cmp_le_u32_e32 vcc_lo, s6, v3
	v_dual_cndmask_b32 v3, v5, v7, vcc_lo :: v_dual_bitop2_b32 v2, v2, v0 bitop3:0x14
	s_delay_alu instid0(VALU_DEP_1) | instskip(NEXT) | instid1(VALU_DEP_1)
	v_dual_sub_nc_u32 v0, v2, v0 :: v_dual_bitop2_b32 v3, v3, v1 bitop3:0x14
	v_sub_nc_u32_e32 v6, v3, v1
	s_delay_alu instid0(VALU_DEP_1)
	v_cmpx_lt_i32_e64 v0, v6
	s_cbranch_execz .LBB2_3
; %bb.1:
	s_load_b128 s[4:7], s[0:1], 0x0
	v_ashrrev_i32_e32 v1, 31, v0
	s_delay_alu instid0(VALU_DEP_1) | instskip(SKIP_1) | instid1(VALU_DEP_1)
	v_lshlrev_b64_e32 v[4:5], 2, v[0:1]
	s_wait_kmcnt 0x0
	v_add_nc_u64_e32 v[2:3], s[6:7], v[4:5]
	v_add_nc_u64_e32 v[4:5], s[4:5], v[4:5]
.LBB2_2:                                ; =>This Inner Loop Header: Depth=1
	global_load_b32 v1, v[2:3], off
	global_load_b32 v7, v[4:5], off
	v_add_nc_u32_e32 v0, 1, v0
	s_wait_xcnt 0x1
	v_add_nc_u64_e32 v[2:3], 4, v[2:3]
	s_wait_loadcnt 0x0
	v_fmac_f32_e32 v7, 0x3dcccccd, v1
	v_cmp_ge_i32_e32 vcc_lo, v0, v6
	global_store_b32 v[4:5], v7, off
	s_wait_xcnt 0x0
	v_add_nc_u64_e32 v[4:5], 4, v[4:5]
	s_or_b32 s2, vcc_lo, s2
	s_delay_alu instid0(SALU_CYCLE_1)
	s_and_not1_b32 exec_lo, exec_lo, s2
	s_cbranch_execnz .LBB2_2
.LBB2_3:
	s_endpgm
	.section	.rodata,"a",@progbits
	.p2align	6, 0x0
	.amdhsa_kernel _Z10apply_gradPfS_i
		.amdhsa_group_segment_fixed_size 0
		.amdhsa_private_segment_fixed_size 0
		.amdhsa_kernarg_size 280
		.amdhsa_user_sgpr_count 2
		.amdhsa_user_sgpr_dispatch_ptr 0
		.amdhsa_user_sgpr_queue_ptr 0
		.amdhsa_user_sgpr_kernarg_segment_ptr 1
		.amdhsa_user_sgpr_dispatch_id 0
		.amdhsa_user_sgpr_kernarg_preload_length 0
		.amdhsa_user_sgpr_kernarg_preload_offset 0
		.amdhsa_user_sgpr_private_segment_size 0
		.amdhsa_wavefront_size32 1
		.amdhsa_uses_dynamic_stack 0
		.amdhsa_enable_private_segment 0
		.amdhsa_system_sgpr_workgroup_id_x 1
		.amdhsa_system_sgpr_workgroup_id_y 0
		.amdhsa_system_sgpr_workgroup_id_z 0
		.amdhsa_system_sgpr_workgroup_info 0
		.amdhsa_system_vgpr_workitem_id 0
		.amdhsa_next_free_vgpr 9
		.amdhsa_next_free_sgpr 8
		.amdhsa_named_barrier_count 0
		.amdhsa_reserve_vcc 1
		.amdhsa_float_round_mode_32 0
		.amdhsa_float_round_mode_16_64 0
		.amdhsa_float_denorm_mode_32 3
		.amdhsa_float_denorm_mode_16_64 3
		.amdhsa_fp16_overflow 0
		.amdhsa_memory_ordered 1
		.amdhsa_forward_progress 1
		.amdhsa_inst_pref_size 5
		.amdhsa_round_robin_scheduling 0
		.amdhsa_exception_fp_ieee_invalid_op 0
		.amdhsa_exception_fp_denorm_src 0
		.amdhsa_exception_fp_ieee_div_zero 0
		.amdhsa_exception_fp_ieee_overflow 0
		.amdhsa_exception_fp_ieee_underflow 0
		.amdhsa_exception_fp_ieee_inexact 0
		.amdhsa_exception_int_div_zero 0
	.end_amdhsa_kernel
	.text
.Lfunc_end2:
	.size	_Z10apply_gradPfS_i, .Lfunc_end2-_Z10apply_gradPfS_i
                                        ; -- End function
	.set _Z10apply_gradPfS_i.num_vgpr, 9
	.set _Z10apply_gradPfS_i.num_agpr, 0
	.set _Z10apply_gradPfS_i.numbered_sgpr, 8
	.set _Z10apply_gradPfS_i.num_named_barrier, 0
	.set _Z10apply_gradPfS_i.private_seg_size, 0
	.set _Z10apply_gradPfS_i.uses_vcc, 1
	.set _Z10apply_gradPfS_i.uses_flat_scratch, 0
	.set _Z10apply_gradPfS_i.has_dyn_sized_stack, 0
	.set _Z10apply_gradPfS_i.has_recursion, 0
	.set _Z10apply_gradPfS_i.has_indirect_call, 0
	.section	.AMDGPU.csdata,"",@progbits
; Kernel info:
; codeLenInByte = 528
; TotalNumSgprs: 10
; NumVgprs: 9
; ScratchSize: 0
; MemoryBound: 0
; FloatMode: 240
; IeeeMode: 1
; LDSByteSize: 0 bytes/workgroup (compile time only)
; SGPRBlocks: 0
; VGPRBlocks: 0
; NumSGPRsForWavesPerEU: 10
; NumVGPRsForWavesPerEU: 9
; NamedBarCnt: 0
; Occupancy: 16
; WaveLimiterHint : 0
; COMPUTE_PGM_RSRC2:SCRATCH_EN: 0
; COMPUTE_PGM_RSRC2:USER_SGPR: 2
; COMPUTE_PGM_RSRC2:TRAP_HANDLER: 0
; COMPUTE_PGM_RSRC2:TGID_X_EN: 1
; COMPUTE_PGM_RSRC2:TGID_Y_EN: 0
; COMPUTE_PGM_RSRC2:TGID_Z_EN: 0
; COMPUTE_PGM_RSRC2:TIDIG_COMP_CNT: 0
	.text
	.protected	_Z12fp_preact_c1PA28_fPA24_A24_fPA5_A5_f ; -- Begin function _Z12fp_preact_c1PA28_fPA24_A24_fPA5_A5_f
	.globl	_Z12fp_preact_c1PA28_fPA24_A24_fPA5_A5_f
	.p2align	8
	.type	_Z12fp_preact_c1PA28_fPA24_A24_fPA5_A5_f,@function
_Z12fp_preact_c1PA28_fPA24_A24_fPA5_A5_f: ; @_Z12fp_preact_c1PA28_fPA24_A24_fPA5_A5_f
; %bb.0:
	s_clause 0x1
	s_load_b32 s2, s[0:1], 0x24
	s_load_b32 s3, s[0:1], 0x18
	s_bfe_u32 s4, ttmp6, 0x4000c
	s_and_b32 s5, ttmp6, 15
	s_add_co_i32 s4, s4, 1
	s_getreg_b32 s6, hwreg(HW_REG_IB_STS2, 6, 4)
	s_mul_i32 s4, ttmp9, s4
	s_mov_b32 s8, 0
	s_add_co_i32 s5, s5, s4
	s_wait_kmcnt 0x0
	s_and_b32 s2, s2, 0xffff
	s_cmp_eq_u32 s6, 0
	s_mul_i32 s3, s3, s2
	s_cselect_b32 s4, ttmp9, s5
	s_abs_i32 s5, s3
	v_mad_u32 v0, s4, s2, v0
	s_cvt_f32_u32 s2, s5
	s_sub_co_i32 s4, 0, s5
	s_ashr_i32 s3, s3, 31
	s_delay_alu instid0(SALU_CYCLE_1) | instskip(NEXT) | instid1(VALU_DEP_1)
	v_rcp_iflag_f32_e32 v1, s2
	v_mul_lo_u32 v0, 0x15180, v0
	s_delay_alu instid0(TRANS32_DEP_1) | instskip(SKIP_1) | instid1(SALU_CYCLE_3)
	v_readfirstlane_b32 s2, v1
	s_mul_f32 s2, s2, 0x4f7ffffe
	s_cvt_u32_f32 s2, s2
	v_add_nc_u32_e32 v2, 0x15180, v0
	v_sub_nc_u32_e32 v3, 0xfffeae80, v0
	v_sub_nc_u32_e32 v1, 0, v0
	s_mul_i32 s4, s4, s2
	s_delay_alu instid0(SALU_CYCLE_1) | instskip(NEXT) | instid1(VALU_DEP_2)
	s_mul_hi_u32 s4, s2, s4
	v_max_i32_e32 v3, v2, v3
	s_delay_alu instid0(VALU_DEP_2)
	v_dual_ashrrev_i32 v0, 31, v0 :: v_dual_max_i32 v1, v0, v1
	s_add_co_i32 s2, s2, s4
	s_delay_alu instid0(VALU_DEP_2) | instid1(SALU_CYCLE_1)
	v_mul_hi_u32 v5, v3, s2
	s_delay_alu instid0(VALU_DEP_2) | instskip(NEXT) | instid1(VALU_DEP_2)
	v_mul_hi_u32 v4, v1, s2
	v_mul_lo_u32 v7, v5, s5
	s_delay_alu instid0(VALU_DEP_2) | instskip(NEXT) | instid1(VALU_DEP_2)
	v_mul_lo_u32 v6, v4, s5
	v_dual_sub_nc_u32 v3, v3, v7 :: v_dual_bitop2_b32 v0, s3, v0 bitop3:0x14
	s_delay_alu instid0(VALU_DEP_2) | instskip(NEXT) | instid1(VALU_DEP_2)
	v_dual_sub_nc_u32 v1, v1, v6 :: v_dual_add_nc_u32 v6, 1, v4
	v_subrev_nc_u32_e32 v8, s5, v3
	s_delay_alu instid0(VALU_DEP_2) | instskip(SKIP_1) | instid1(VALU_DEP_4)
	v_cmp_le_u32_e32 vcc_lo, s5, v1
	v_cmp_le_u32_e64 s2, s5, v3
	v_cndmask_b32_e32 v4, v4, v6, vcc_lo
	v_subrev_nc_u32_e32 v6, s5, v1
	s_delay_alu instid0(VALU_DEP_1) | instskip(NEXT) | instid1(VALU_DEP_3)
	v_dual_cndmask_b32 v1, v1, v6, vcc_lo :: v_dual_add_nc_u32 v7, 1, v5
	v_dual_ashrrev_i32 v2, 31, v2 :: v_dual_add_nc_u32 v6, 1, v4
	s_delay_alu instid0(VALU_DEP_2) | instskip(NEXT) | instid1(VALU_DEP_3)
	v_cmp_le_u32_e32 vcc_lo, s5, v1
	v_dual_cndmask_b32 v5, v5, v7, s2 :: v_dual_cndmask_b32 v3, v3, v8, s2
	s_mov_b32 s2, exec_lo
	s_delay_alu instid0(VALU_DEP_1) | instskip(NEXT) | instid1(VALU_DEP_2)
	v_dual_cndmask_b32 v1, v4, v6, vcc_lo :: v_dual_add_nc_u32 v7, 1, v5
	v_cmp_le_u32_e32 vcc_lo, s5, v3
	v_xor_b32_e32 v2, s3, v2
	s_delay_alu instid0(VALU_DEP_3) | instskip(NEXT) | instid1(VALU_DEP_4)
	v_xor_b32_e32 v1, v1, v0
	v_cndmask_b32_e32 v3, v5, v7, vcc_lo
	s_delay_alu instid0(VALU_DEP_1) | instskip(NEXT) | instid1(VALU_DEP_1)
	v_dual_sub_nc_u32 v0, v1, v0 :: v_dual_bitop2_b32 v3, v3, v2 bitop3:0x14
	v_sub_nc_u32_e32 v1, v3, v2
	s_delay_alu instid0(VALU_DEP_1)
	v_cmpx_lt_i32_e64 v0, v1
	s_cbranch_execz .LBB3_3
; %bb.1:
	s_clause 0x1
	s_load_b128 s[4:7], s[0:1], 0x0
	s_load_b64 s[2:3], s[0:1], 0x10
.LBB3_2:                                ; =>This Inner Loop Header: Depth=1
	v_mul_hi_i32 v2, 0x66666667, v0
	v_mul_hi_i32 v3, 0x51eb851f, v0
	;; [unrolled: 1-line block ×4, first 2 shown]
	s_delay_alu instid0(VALU_DEP_4) | instskip(NEXT) | instid1(VALU_DEP_4)
	v_dual_lshrrev_b32 v6, 31, v2 :: v_dual_ashrrev_i32 v2, 1, v2
	v_dual_lshrrev_b32 v7, 31, v3 :: v_dual_ashrrev_i32 v3, 3, v3
	s_delay_alu instid0(VALU_DEP_4) | instskip(NEXT) | instid1(VALU_DEP_3)
	v_dual_lshrrev_b32 v8, 31, v4 :: v_dual_ashrrev_i32 v4, 4, v4
	v_dual_add_nc_u32 v5, v5, v0 :: v_dual_add_nc_u32 v6, v2, v6
	s_delay_alu instid0(VALU_DEP_2) | instskip(NEXT) | instid1(VALU_DEP_2)
	v_dual_add_nc_u32 v2, v3, v7 :: v_dual_add_nc_u32 v3, v4, v8
	v_dual_lshrrev_b32 v4, 31, v5 :: v_dual_ashrrev_i32 v5, 11, v5
	s_delay_alu instid0(VALU_DEP_3) | instskip(NEXT) | instid1(VALU_DEP_3)
	v_mul_hi_i32 v7, 0x66666667, v6
	v_mul_hi_i32 v8, 0x2aaaaaab, v2
	s_delay_alu instid0(VALU_DEP_4) | instskip(SKIP_4) | instid1(VALU_DEP_3)
	v_mul_hi_i32 v9, 0x2aaaaaab, v3
	v_mad_u32 v10, v6, -5, v0
	v_add_nc_u32_e32 v5, v5, v4
	v_lshl_add_u32 v4, v6, 2, v6
	v_lshrrev_b32_e32 v12, 31, v7
	v_mul_hi_i32 v11, 0x2aaaaaab, v5
	v_dual_lshrrev_b32 v13, 31, v8 :: v_dual_lshrrev_b32 v14, 31, v9
	v_dual_lshrrev_b32 v9, 2, v9 :: v_dual_ashrrev_i32 v7, 1, v7
	s_delay_alu instid0(VALU_DEP_1) | instskip(NEXT) | instid1(VALU_DEP_2)
	v_dual_add_nc_u32 v8, v8, v13 :: v_dual_add_nc_u32 v9, v9, v14
	v_dual_add_nc_u32 v7, v7, v12 :: v_dual_lshrrev_b32 v12, 31, v11
	s_delay_alu instid0(VALU_DEP_2) | instskip(SKIP_1) | instid1(VALU_DEP_4)
	v_mul_lo_u32 v8, v8, 6
	v_lshrrev_b32_e32 v11, 2, v11
	v_mul_lo_u32 v9, v9, 24
	s_delay_alu instid0(VALU_DEP_2) | instskip(NEXT) | instid1(VALU_DEP_1)
	v_add_nc_u32_e32 v11, v11, v12
	v_mul_lo_u32 v11, v11, 24
	s_delay_alu instid0(VALU_DEP_3) | instskip(SKIP_1) | instid1(VALU_DEP_1)
	v_dual_sub_nc_u32 v12, v2, v8 :: v_dual_sub_nc_u32 v13, v3, v9
	s_wait_kmcnt 0x0
	v_mad_nc_i64_i32 v[2:3], 0x64, v12, s[2:3]
	s_delay_alu instid0(VALU_DEP_2) | instskip(SKIP_1) | instid1(VALU_DEP_1)
	v_sub_nc_u32_e32 v8, v13, v4
	v_lshl_add_u32 v4, v7, 2, v7
	v_dual_sub_nc_u32 v4, v6, v4 :: v_dual_sub_nc_u32 v6, v5, v11
	s_delay_alu instid0(VALU_DEP_4) | instskip(NEXT) | instid1(VALU_DEP_2)
	v_mad_nc_i64_i32 v[2:3], v10, 20, v[2:3]
	v_dual_ashrrev_i32 v5, 31, v4 :: v_dual_add_nc_u32 v10, v6, v4
	v_add_nc_u32_e32 v7, v0, v8
	s_delay_alu instid0(VALU_DEP_2) | instskip(NEXT) | instid1(VALU_DEP_2)
	v_dual_add_nc_u32 v0, 1, v0 :: v_dual_ashrrev_i32 v11, 31, v10
	v_mad_nc_i64_i32 v[8:9], 0x70, v7, s[4:5]
	v_ashrrev_i32_e32 v7, 31, v6
	s_delay_alu instid0(VALU_DEP_3) | instskip(SKIP_2) | instid1(VALU_DEP_4)
	v_cmp_ge_i32_e32 vcc_lo, v0, v1
	v_lshl_add_u64 v[2:3], v[4:5], 2, v[2:3]
	s_or_b32 s8, vcc_lo, s8
	v_lshl_add_u64 v[8:9], v[10:11], 2, v[8:9]
	global_load_b32 v4, v[8:9], off
	global_load_b32 v5, v[2:3], off
	s_wait_xcnt 0x0
	v_mad_nc_i64_i32 v[2:3], 0x900, v12, s[6:7]
	s_delay_alu instid0(VALU_DEP_1) | instskip(NEXT) | instid1(VALU_DEP_1)
	v_mad_nc_i64_i32 v[2:3], 0x60, v13, v[2:3]
	v_lshl_add_u64 v[2:3], v[6:7], 2, v[2:3]
	s_wait_loadcnt 0x0
	v_mul_f32_e32 v4, v5, v4
	global_atomic_add_f32 v[2:3], v4, off scope:SCOPE_DEV
	s_wait_xcnt 0x0
	s_and_not1_b32 exec_lo, exec_lo, s8
	s_cbranch_execnz .LBB3_2
.LBB3_3:
	s_endpgm
	.section	.rodata,"a",@progbits
	.p2align	6, 0x0
	.amdhsa_kernel _Z12fp_preact_c1PA28_fPA24_A24_fPA5_A5_f
		.amdhsa_group_segment_fixed_size 0
		.amdhsa_private_segment_fixed_size 0
		.amdhsa_kernarg_size 280
		.amdhsa_user_sgpr_count 2
		.amdhsa_user_sgpr_dispatch_ptr 0
		.amdhsa_user_sgpr_queue_ptr 0
		.amdhsa_user_sgpr_kernarg_segment_ptr 1
		.amdhsa_user_sgpr_dispatch_id 0
		.amdhsa_user_sgpr_kernarg_preload_length 0
		.amdhsa_user_sgpr_kernarg_preload_offset 0
		.amdhsa_user_sgpr_private_segment_size 0
		.amdhsa_wavefront_size32 1
		.amdhsa_uses_dynamic_stack 0
		.amdhsa_enable_private_segment 0
		.amdhsa_system_sgpr_workgroup_id_x 1
		.amdhsa_system_sgpr_workgroup_id_y 0
		.amdhsa_system_sgpr_workgroup_id_z 0
		.amdhsa_system_sgpr_workgroup_info 0
		.amdhsa_system_vgpr_workitem_id 0
		.amdhsa_next_free_vgpr 15
		.amdhsa_next_free_sgpr 9
		.amdhsa_named_barrier_count 0
		.amdhsa_reserve_vcc 1
		.amdhsa_float_round_mode_32 0
		.amdhsa_float_round_mode_16_64 0
		.amdhsa_float_denorm_mode_32 3
		.amdhsa_float_denorm_mode_16_64 3
		.amdhsa_fp16_overflow 0
		.amdhsa_memory_ordered 1
		.amdhsa_forward_progress 1
		.amdhsa_inst_pref_size 8
		.amdhsa_round_robin_scheduling 0
		.amdhsa_exception_fp_ieee_invalid_op 0
		.amdhsa_exception_fp_denorm_src 0
		.amdhsa_exception_fp_ieee_div_zero 0
		.amdhsa_exception_fp_ieee_overflow 0
		.amdhsa_exception_fp_ieee_underflow 0
		.amdhsa_exception_fp_ieee_inexact 0
		.amdhsa_exception_int_div_zero 0
	.end_amdhsa_kernel
	.text
.Lfunc_end3:
	.size	_Z12fp_preact_c1PA28_fPA24_A24_fPA5_A5_f, .Lfunc_end3-_Z12fp_preact_c1PA28_fPA24_A24_fPA5_A5_f
                                        ; -- End function
	.set _Z12fp_preact_c1PA28_fPA24_A24_fPA5_A5_f.num_vgpr, 15
	.set _Z12fp_preact_c1PA28_fPA24_A24_fPA5_A5_f.num_agpr, 0
	.set _Z12fp_preact_c1PA28_fPA24_A24_fPA5_A5_f.numbered_sgpr, 9
	.set _Z12fp_preact_c1PA28_fPA24_A24_fPA5_A5_f.num_named_barrier, 0
	.set _Z12fp_preact_c1PA28_fPA24_A24_fPA5_A5_f.private_seg_size, 0
	.set _Z12fp_preact_c1PA28_fPA24_A24_fPA5_A5_f.uses_vcc, 1
	.set _Z12fp_preact_c1PA28_fPA24_A24_fPA5_A5_f.uses_flat_scratch, 0
	.set _Z12fp_preact_c1PA28_fPA24_A24_fPA5_A5_f.has_dyn_sized_stack, 0
	.set _Z12fp_preact_c1PA28_fPA24_A24_fPA5_A5_f.has_recursion, 0
	.set _Z12fp_preact_c1PA28_fPA24_A24_fPA5_A5_f.has_indirect_call, 0
	.section	.AMDGPU.csdata,"",@progbits
; Kernel info:
; codeLenInByte = 992
; TotalNumSgprs: 11
; NumVgprs: 15
; ScratchSize: 0
; MemoryBound: 0
; FloatMode: 240
; IeeeMode: 1
; LDSByteSize: 0 bytes/workgroup (compile time only)
; SGPRBlocks: 0
; VGPRBlocks: 0
; NumSGPRsForWavesPerEU: 11
; NumVGPRsForWavesPerEU: 15
; NamedBarCnt: 0
; Occupancy: 16
; WaveLimiterHint : 0
; COMPUTE_PGM_RSRC2:SCRATCH_EN: 0
; COMPUTE_PGM_RSRC2:USER_SGPR: 2
; COMPUTE_PGM_RSRC2:TRAP_HANDLER: 0
; COMPUTE_PGM_RSRC2:TGID_X_EN: 1
; COMPUTE_PGM_RSRC2:TGID_Y_EN: 0
; COMPUTE_PGM_RSRC2:TGID_Z_EN: 0
; COMPUTE_PGM_RSRC2:TIDIG_COMP_CNT: 0
	.text
	.protected	_Z10fp_bias_c1PA24_A24_fPf ; -- Begin function _Z10fp_bias_c1PA24_A24_fPf
	.globl	_Z10fp_bias_c1PA24_A24_fPf
	.p2align	8
	.type	_Z10fp_bias_c1PA24_A24_fPf,@function
_Z10fp_bias_c1PA24_A24_fPf:             ; @_Z10fp_bias_c1PA24_A24_fPf
; %bb.0:
	s_clause 0x1
	s_load_b32 s2, s[0:1], 0x1c
	s_load_b32 s3, s[0:1], 0x10
	s_bfe_u32 s4, ttmp6, 0x4000c
	s_and_b32 s5, ttmp6, 15
	s_add_co_i32 s4, s4, 1
	s_getreg_b32 s6, hwreg(HW_REG_IB_STS2, 6, 4)
	s_mul_i32 s4, ttmp9, s4
	s_delay_alu instid0(SALU_CYCLE_1)
	s_add_co_i32 s5, s5, s4
	s_wait_kmcnt 0x0
	s_and_b32 s2, s2, 0xffff
	s_cmp_eq_u32 s6, 0
	s_mul_i32 s3, s3, s2
	s_cselect_b32 s4, ttmp9, s5
	s_abs_i32 s5, s3
	v_mad_u32 v0, s4, s2, v0
	s_cvt_f32_u32 s2, s5
	s_sub_co_i32 s4, 0, s5
	s_ashr_i32 s3, s3, 31
	s_delay_alu instid0(SALU_CYCLE_1) | instskip(NEXT) | instid1(VALU_DEP_1)
	v_rcp_iflag_f32_e32 v1, s2
	v_mul_lo_u32 v0, 0xd80, v0
	s_delay_alu instid0(TRANS32_DEP_1) | instskip(SKIP_1) | instid1(SALU_CYCLE_3)
	v_readfirstlane_b32 s2, v1
	s_mul_f32 s2, s2, 0x4f7ffffe
	s_cvt_u32_f32 s2, s2
	v_add_nc_u32_e32 v2, 0xd80, v0
	v_sub_nc_u32_e32 v3, 0xfffff280, v0
	v_sub_nc_u32_e32 v1, 0, v0
	s_mul_i32 s4, s4, s2
	s_delay_alu instid0(SALU_CYCLE_1) | instskip(NEXT) | instid1(VALU_DEP_2)
	s_mul_hi_u32 s4, s2, s4
	v_max_i32_e32 v3, v2, v3
	s_delay_alu instid0(VALU_DEP_2) | instskip(SKIP_2) | instid1(VALU_DEP_2)
	v_dual_ashrrev_i32 v0, 31, v0 :: v_dual_max_i32 v1, v0, v1
	s_add_co_i32 s2, s2, s4
	s_mov_b32 s4, 0
	v_mul_hi_u32 v5, v3, s2
	s_delay_alu instid0(VALU_DEP_2) | instskip(NEXT) | instid1(VALU_DEP_2)
	v_mul_hi_u32 v4, v1, s2
	v_mul_lo_u32 v7, v5, s5
	s_delay_alu instid0(VALU_DEP_2) | instskip(NEXT) | instid1(VALU_DEP_2)
	v_mul_lo_u32 v6, v4, s5
	v_dual_sub_nc_u32 v3, v3, v7 :: v_dual_bitop2_b32 v0, s3, v0 bitop3:0x14
	s_delay_alu instid0(VALU_DEP_2) | instskip(NEXT) | instid1(VALU_DEP_2)
	v_dual_sub_nc_u32 v1, v1, v6 :: v_dual_add_nc_u32 v6, 1, v4
	v_subrev_nc_u32_e32 v8, s5, v3
	s_delay_alu instid0(VALU_DEP_2) | instskip(SKIP_1) | instid1(VALU_DEP_4)
	v_cmp_le_u32_e32 vcc_lo, s5, v1
	v_cmp_le_u32_e64 s2, s5, v3
	v_cndmask_b32_e32 v4, v4, v6, vcc_lo
	v_subrev_nc_u32_e32 v6, s5, v1
	s_delay_alu instid0(VALU_DEP_1) | instskip(NEXT) | instid1(VALU_DEP_3)
	v_dual_cndmask_b32 v1, v1, v6, vcc_lo :: v_dual_add_nc_u32 v7, 1, v5
	v_dual_ashrrev_i32 v2, 31, v2 :: v_dual_add_nc_u32 v6, 1, v4
	s_delay_alu instid0(VALU_DEP_2) | instskip(NEXT) | instid1(VALU_DEP_3)
	v_cmp_le_u32_e32 vcc_lo, s5, v1
	v_dual_cndmask_b32 v5, v5, v7, s2 :: v_dual_cndmask_b32 v3, v3, v8, s2
	s_mov_b32 s2, exec_lo
	s_delay_alu instid0(VALU_DEP_1) | instskip(NEXT) | instid1(VALU_DEP_2)
	v_dual_cndmask_b32 v1, v4, v6, vcc_lo :: v_dual_add_nc_u32 v7, 1, v5
	v_cmp_le_u32_e32 vcc_lo, s5, v3
	v_xor_b32_e32 v2, s3, v2
	s_delay_alu instid0(VALU_DEP_3) | instskip(NEXT) | instid1(VALU_DEP_4)
	v_xor_b32_e32 v1, v1, v0
	v_cndmask_b32_e32 v3, v5, v7, vcc_lo
	s_delay_alu instid0(VALU_DEP_1) | instskip(NEXT) | instid1(VALU_DEP_1)
	v_dual_sub_nc_u32 v0, v1, v0 :: v_dual_bitop2_b32 v3, v3, v2 bitop3:0x14
	v_sub_nc_u32_e32 v1, v3, v2
	s_delay_alu instid0(VALU_DEP_1)
	v_cmpx_lt_i32_e64 v0, v1
	s_cbranch_execz .LBB4_3
; %bb.1:
	s_load_b128 s[0:3], s[0:1], 0x0
.LBB4_2:                                ; =>This Inner Loop Header: Depth=1
	v_mul_hi_i32 v2, 0x2aaaaaab, v0
	v_mul_hi_i32 v3, 0x38e38e39, v0
	s_delay_alu instid0(VALU_DEP_1) | instskip(NEXT) | instid1(VALU_DEP_1)
	v_dual_lshrrev_b32 v4, 31, v2 :: v_dual_lshrrev_b32 v5, 31, v3
	v_dual_add_nc_u32 v4, v2, v4 :: v_dual_ashrrev_i32 v2, 5, v3
	s_delay_alu instid0(VALU_DEP_1) | instskip(NEXT) | instid1(VALU_DEP_2)
	v_mul_hi_i32 v3, 0x2aaaaaab, v4
	v_add_nc_u32_e32 v5, v2, v5
	v_mad_u32 v7, v4, -6, v0
	v_add_nc_u32_e32 v0, 1, v0
	s_delay_alu instid0(VALU_DEP_1) | instskip(SKIP_4) | instid1(VALU_DEP_2)
	v_cmp_ge_i32_e32 vcc_lo, v0, v1
	v_lshrrev_b32_e32 v6, 31, v3
	v_mul_hi_i32 v2, 0x2aaaaaab, v5
	v_lshrrev_b32_e32 v3, 2, v3
	s_or_b32 s4, vcc_lo, s4
	v_dual_lshrrev_b32 v8, 31, v2 :: v_dual_lshrrev_b32 v2, 2, v2
	s_delay_alu instid0(VALU_DEP_1) | instskip(NEXT) | instid1(VALU_DEP_1)
	v_dual_add_nc_u32 v3, v3, v6 :: v_dual_add_nc_u32 v8, v2, v8
	v_mul_lo_u32 v6, v3, 24
	s_wait_kmcnt 0x0
	v_mad_nc_i64_i32 v[2:3], 0x900, v7, s[0:1]
	s_delay_alu instid0(VALU_DEP_3) | instskip(NEXT) | instid1(VALU_DEP_3)
	v_mul_lo_u32 v8, v8, 24
	v_sub_nc_u32_e32 v4, v4, v6
	s_delay_alu instid0(VALU_DEP_1) | instskip(NEXT) | instid1(VALU_DEP_3)
	v_mad_nc_i64_i32 v[2:3], 0x60, v4, v[2:3]
	v_sub_nc_u32_e32 v4, v5, v8
	s_delay_alu instid0(VALU_DEP_1) | instskip(NEXT) | instid1(VALU_DEP_1)
	v_ashrrev_i32_e32 v5, 31, v4
	v_lshl_add_u64 v[2:3], v[4:5], 2, v[2:3]
	global_load_b32 v4, v7, s[2:3] scale_offset
	global_load_b32 v5, v[2:3], off
	s_wait_loadcnt 0x0
	v_add_f32_e32 v4, v4, v5
	global_store_b32 v[2:3], v4, off
	s_wait_xcnt 0x0
	s_and_not1_b32 exec_lo, exec_lo, s4
	s_cbranch_execnz .LBB4_2
.LBB4_3:
	s_endpgm
	.section	.rodata,"a",@progbits
	.p2align	6, 0x0
	.amdhsa_kernel _Z10fp_bias_c1PA24_A24_fPf
		.amdhsa_group_segment_fixed_size 0
		.amdhsa_private_segment_fixed_size 0
		.amdhsa_kernarg_size 272
		.amdhsa_user_sgpr_count 2
		.amdhsa_user_sgpr_dispatch_ptr 0
		.amdhsa_user_sgpr_queue_ptr 0
		.amdhsa_user_sgpr_kernarg_segment_ptr 1
		.amdhsa_user_sgpr_dispatch_id 0
		.amdhsa_user_sgpr_kernarg_preload_length 0
		.amdhsa_user_sgpr_kernarg_preload_offset 0
		.amdhsa_user_sgpr_private_segment_size 0
		.amdhsa_wavefront_size32 1
		.amdhsa_uses_dynamic_stack 0
		.amdhsa_enable_private_segment 0
		.amdhsa_system_sgpr_workgroup_id_x 1
		.amdhsa_system_sgpr_workgroup_id_y 0
		.amdhsa_system_sgpr_workgroup_id_z 0
		.amdhsa_system_sgpr_workgroup_info 0
		.amdhsa_system_vgpr_workitem_id 0
		.amdhsa_next_free_vgpr 9
		.amdhsa_next_free_sgpr 7
		.amdhsa_named_barrier_count 0
		.amdhsa_reserve_vcc 1
		.amdhsa_float_round_mode_32 0
		.amdhsa_float_round_mode_16_64 0
		.amdhsa_float_denorm_mode_32 3
		.amdhsa_float_denorm_mode_16_64 3
		.amdhsa_fp16_overflow 0
		.amdhsa_memory_ordered 1
		.amdhsa_forward_progress 1
		.amdhsa_inst_pref_size 6
		.amdhsa_round_robin_scheduling 0
		.amdhsa_exception_fp_ieee_invalid_op 0
		.amdhsa_exception_fp_denorm_src 0
		.amdhsa_exception_fp_ieee_div_zero 0
		.amdhsa_exception_fp_ieee_overflow 0
		.amdhsa_exception_fp_ieee_underflow 0
		.amdhsa_exception_fp_ieee_inexact 0
		.amdhsa_exception_int_div_zero 0
	.end_amdhsa_kernel
	.text
.Lfunc_end4:
	.size	_Z10fp_bias_c1PA24_A24_fPf, .Lfunc_end4-_Z10fp_bias_c1PA24_A24_fPf
                                        ; -- End function
	.set _Z10fp_bias_c1PA24_A24_fPf.num_vgpr, 9
	.set _Z10fp_bias_c1PA24_A24_fPf.num_agpr, 0
	.set _Z10fp_bias_c1PA24_A24_fPf.numbered_sgpr, 7
	.set _Z10fp_bias_c1PA24_A24_fPf.num_named_barrier, 0
	.set _Z10fp_bias_c1PA24_A24_fPf.private_seg_size, 0
	.set _Z10fp_bias_c1PA24_A24_fPf.uses_vcc, 1
	.set _Z10fp_bias_c1PA24_A24_fPf.uses_flat_scratch, 0
	.set _Z10fp_bias_c1PA24_A24_fPf.has_dyn_sized_stack, 0
	.set _Z10fp_bias_c1PA24_A24_fPf.has_recursion, 0
	.set _Z10fp_bias_c1PA24_A24_fPf.has_indirect_call, 0
	.section	.AMDGPU.csdata,"",@progbits
; Kernel info:
; codeLenInByte = 708
; TotalNumSgprs: 9
; NumVgprs: 9
; ScratchSize: 0
; MemoryBound: 0
; FloatMode: 240
; IeeeMode: 1
; LDSByteSize: 0 bytes/workgroup (compile time only)
; SGPRBlocks: 0
; VGPRBlocks: 0
; NumSGPRsForWavesPerEU: 9
; NumVGPRsForWavesPerEU: 9
; NamedBarCnt: 0
; Occupancy: 16
; WaveLimiterHint : 0
; COMPUTE_PGM_RSRC2:SCRATCH_EN: 0
; COMPUTE_PGM_RSRC2:USER_SGPR: 2
; COMPUTE_PGM_RSRC2:TRAP_HANDLER: 0
; COMPUTE_PGM_RSRC2:TGID_X_EN: 1
; COMPUTE_PGM_RSRC2:TGID_Y_EN: 0
; COMPUTE_PGM_RSRC2:TGID_Z_EN: 0
; COMPUTE_PGM_RSRC2:TIDIG_COMP_CNT: 0
	.text
	.protected	_Z12fp_preact_s1PA24_A24_fPA6_A6_fPA4_A4_f ; -- Begin function _Z12fp_preact_s1PA24_A24_fPA6_A6_fPA4_A4_f
	.globl	_Z12fp_preact_s1PA24_A24_fPA6_A6_fPA4_A4_f
	.p2align	8
	.type	_Z12fp_preact_s1PA24_A24_fPA6_A6_fPA4_A4_f,@function
_Z12fp_preact_s1PA24_A24_fPA6_A6_fPA4_A4_f: ; @_Z12fp_preact_s1PA24_A24_fPA6_A6_fPA4_A4_f
; %bb.0:
	s_clause 0x1
	s_load_b32 s2, s[0:1], 0x24
	s_load_b32 s3, s[0:1], 0x18
	s_bfe_u32 s4, ttmp6, 0x4000c
	s_and_b32 s5, ttmp6, 15
	s_add_co_i32 s4, s4, 1
	s_getreg_b32 s6, hwreg(HW_REG_IB_STS2, 6, 4)
	s_mul_i32 s4, ttmp9, s4
	s_mov_b32 s8, 0
	s_add_co_i32 s5, s5, s4
	s_wait_kmcnt 0x0
	s_and_b32 s2, s2, 0xffff
	s_cmp_eq_u32 s6, 0
	s_mul_i32 s3, s3, s2
	s_cselect_b32 s4, ttmp9, s5
	s_abs_i32 s5, s3
	v_mad_u32 v0, s4, s2, v0
	s_cvt_f32_u32 s2, s5
	s_sub_co_i32 s4, 0, s5
	s_ashr_i32 s3, s3, 31
	s_delay_alu instid0(SALU_CYCLE_1) | instskip(NEXT) | instid1(VALU_DEP_1)
	v_rcp_iflag_f32_e32 v1, s2
	v_mul_lo_u32 v0, 0xd80, v0
	s_delay_alu instid0(TRANS32_DEP_1) | instskip(SKIP_1) | instid1(SALU_CYCLE_3)
	v_readfirstlane_b32 s2, v1
	s_mul_f32 s2, s2, 0x4f7ffffe
	s_cvt_u32_f32 s2, s2
	v_add_nc_u32_e32 v2, 0xd80, v0
	v_sub_nc_u32_e32 v3, 0xfffff280, v0
	v_sub_nc_u32_e32 v1, 0, v0
	s_mul_i32 s4, s4, s2
	s_delay_alu instid0(SALU_CYCLE_1) | instskip(NEXT) | instid1(VALU_DEP_2)
	s_mul_hi_u32 s4, s2, s4
	v_max_i32_e32 v3, v2, v3
	s_delay_alu instid0(VALU_DEP_2)
	v_dual_ashrrev_i32 v0, 31, v0 :: v_dual_max_i32 v1, v0, v1
	s_add_co_i32 s2, s2, s4
	s_delay_alu instid0(VALU_DEP_2) | instid1(SALU_CYCLE_1)
	v_mul_hi_u32 v5, v3, s2
	s_delay_alu instid0(VALU_DEP_2) | instskip(NEXT) | instid1(VALU_DEP_2)
	v_mul_hi_u32 v4, v1, s2
	v_mul_lo_u32 v7, v5, s5
	s_delay_alu instid0(VALU_DEP_2) | instskip(NEXT) | instid1(VALU_DEP_2)
	v_mul_lo_u32 v6, v4, s5
	v_dual_sub_nc_u32 v3, v3, v7 :: v_dual_bitop2_b32 v0, s3, v0 bitop3:0x14
	s_delay_alu instid0(VALU_DEP_2) | instskip(NEXT) | instid1(VALU_DEP_2)
	v_dual_sub_nc_u32 v1, v1, v6 :: v_dual_add_nc_u32 v6, 1, v4
	v_subrev_nc_u32_e32 v8, s5, v3
	s_delay_alu instid0(VALU_DEP_2) | instskip(SKIP_1) | instid1(VALU_DEP_4)
	v_cmp_le_u32_e32 vcc_lo, s5, v1
	v_cmp_le_u32_e64 s2, s5, v3
	v_cndmask_b32_e32 v4, v4, v6, vcc_lo
	v_subrev_nc_u32_e32 v6, s5, v1
	s_delay_alu instid0(VALU_DEP_1) | instskip(NEXT) | instid1(VALU_DEP_3)
	v_dual_cndmask_b32 v1, v1, v6, vcc_lo :: v_dual_add_nc_u32 v7, 1, v5
	v_dual_ashrrev_i32 v2, 31, v2 :: v_dual_add_nc_u32 v6, 1, v4
	s_delay_alu instid0(VALU_DEP_2) | instskip(NEXT) | instid1(VALU_DEP_3)
	v_cmp_le_u32_e32 vcc_lo, s5, v1
	v_dual_cndmask_b32 v5, v5, v7, s2 :: v_dual_cndmask_b32 v3, v3, v8, s2
	s_mov_b32 s2, exec_lo
	s_delay_alu instid0(VALU_DEP_1) | instskip(NEXT) | instid1(VALU_DEP_2)
	v_dual_cndmask_b32 v1, v4, v6, vcc_lo :: v_dual_add_nc_u32 v7, 1, v5
	v_cmp_le_u32_e32 vcc_lo, s5, v3
	v_xor_b32_e32 v2, s3, v2
	s_delay_alu instid0(VALU_DEP_3) | instskip(NEXT) | instid1(VALU_DEP_4)
	v_xor_b32_e32 v1, v1, v0
	v_cndmask_b32_e32 v3, v5, v7, vcc_lo
	s_delay_alu instid0(VALU_DEP_1) | instskip(NEXT) | instid1(VALU_DEP_1)
	v_dual_sub_nc_u32 v0, v1, v0 :: v_dual_bitop2_b32 v3, v3, v2 bitop3:0x14
	v_sub_nc_u32_e32 v1, v3, v2
	s_delay_alu instid0(VALU_DEP_1)
	v_cmpx_lt_i32_e64 v0, v1
	s_cbranch_execz .LBB5_3
; %bb.1:
	s_clause 0x1
	s_load_b128 s[4:7], s[0:1], 0x0
	s_load_b64 s[2:3], s[0:1], 0x10
.LBB5_2:                                ; =>This Inner Loop Header: Depth=1
	v_ashrrev_i32_e32 v2, 31, v0
	v_mul_hi_i32 v3, 0x2aaaaaab, v0
	v_mul_hi_i32 v4, 0x38e38e39, v0
	s_delay_alu instid0(VALU_DEP_3) | instskip(NEXT) | instid1(VALU_DEP_1)
	v_lshrrev_b32_e32 v5, 30, v2
	v_dual_add_nc_u32 v5, v0, v5 :: v_dual_lshrrev_b32 v2, 28, v2
	s_delay_alu instid0(VALU_DEP_4) | instskip(NEXT) | instid1(VALU_DEP_4)
	v_dual_lshrrev_b32 v6, 31, v3 :: v_dual_ashrrev_i32 v3, 4, v3
	v_dual_lshrrev_b32 v7, 31, v4 :: v_dual_ashrrev_i32 v4, 7, v4
	s_delay_alu instid0(VALU_DEP_3) | instskip(NEXT) | instid1(VALU_DEP_3)
	v_dual_ashrrev_i32 v8, 2, v5 :: v_dual_add_nc_u32 v2, v0, v2
	v_dual_add_nc_u32 v3, v3, v6 :: v_dual_bitop2_b32 v5, -4, v5 bitop3:0x40
	s_delay_alu instid0(VALU_DEP_2) | instskip(NEXT) | instid1(VALU_DEP_2)
	v_dual_add_nc_u32 v7, v4, v7 :: v_dual_ashrrev_i32 v2, 4, v2
	v_mul_hi_i32 v6, 0x2aaaaaab, v3
	s_delay_alu instid0(VALU_DEP_4) | instskip(NEXT) | instid1(VALU_DEP_3)
	v_lshrrev_b32_e32 v4, 30, v8
	v_mul_hi_i32 v10, 0x2aaaaaab, v7
	s_delay_alu instid0(VALU_DEP_4) | instskip(NEXT) | instid1(VALU_DEP_1)
	v_mul_hi_i32 v9, 0x2aaaaaab, v2
	v_dual_lshrrev_b32 v11, 31, v6 :: v_dual_lshrrev_b32 v12, 31, v9
	s_delay_alu instid0(VALU_DEP_1) | instskip(NEXT) | instid1(VALU_DEP_2)
	v_dual_add_nc_u32 v6, v6, v11 :: v_dual_lshrrev_b32 v11, 31, v10
	v_add_nc_u32_e32 v9, v9, v12
	s_delay_alu instid0(VALU_DEP_2) | instskip(NEXT) | instid1(VALU_DEP_3)
	v_mul_lo_u32 v6, v6, 6
	v_add_nc_u32_e32 v10, v10, v11
	s_delay_alu instid0(VALU_DEP_3) | instskip(NEXT) | instid1(VALU_DEP_3)
	v_mul_lo_u32 v9, v9, 6
	v_sub_nc_u32_e32 v12, v3, v6
	s_delay_alu instid0(VALU_DEP_3) | instskip(NEXT) | instid1(VALU_DEP_2)
	v_mul_lo_u32 v10, v10, 6
	v_dual_sub_nc_u32 v9, v2, v9 :: v_dual_lshlrev_b32 v6, 2, v12
	v_add_nc_u32_e32 v4, v8, v4
	s_wait_kmcnt 0x0
	s_delay_alu instid0(VALU_DEP_2) | instskip(NEXT) | instid1(VALU_DEP_2)
	v_mad_nc_i64_i32 v[2:3], 0x900, v9, s[4:5]
	v_dual_sub_nc_u32 v11, v6, v5 :: v_dual_bitop2_b32 v6, -4, v4 bitop3:0x40
	s_delay_alu instid0(VALU_DEP_1) | instskip(NEXT) | instid1(VALU_DEP_1)
	v_dual_sub_nc_u32 v4, v0, v5 :: v_dual_add_nc_u32 v11, v0, v11
	v_dual_sub_nc_u32 v6, v8, v6 :: v_dual_ashrrev_i32 v5, 31, v4
	v_dual_sub_nc_u32 v8, v7, v10 :: v_dual_add_nc_u32 v0, 1, v0
	s_delay_alu instid0(VALU_DEP_3) | instskip(NEXT) | instid1(VALU_DEP_3)
	v_mad_nc_i64_i32 v[2:3], 0x60, v11, v[2:3]
	v_ashrrev_i32_e32 v7, 31, v6
	s_delay_alu instid0(VALU_DEP_4) | instskip(NEXT) | instid1(VALU_DEP_4)
	v_lshl_add_u64 v[4:5], v[4:5], 4, s[2:3]
	v_lshl_add_u32 v10, v8, 2, v6
	v_cmp_ge_i32_e32 vcc_lo, v0, v1
	s_delay_alu instid0(VALU_DEP_3) | instskip(NEXT) | instid1(VALU_DEP_3)
	v_lshl_add_u64 v[4:5], v[6:7], 2, v[4:5]
	v_ashrrev_i32_e32 v11, 31, v10
	s_or_b32 s8, vcc_lo, s8
	s_delay_alu instid0(VALU_DEP_1)
	v_lshl_add_u64 v[2:3], v[10:11], 2, v[2:3]
	global_load_b32 v6, v[4:5], off
	global_load_b32 v7, v[2:3], off
	s_wait_xcnt 0x0
	v_mad_nc_i64_i32 v[2:3], 0x90, v9, s[6:7]
	v_ashrrev_i32_e32 v9, 31, v8
	s_delay_alu instid0(VALU_DEP_2) | instskip(NEXT) | instid1(VALU_DEP_1)
	v_mad_nc_i64_i32 v[2:3], v12, 24, v[2:3]
	v_lshl_add_u64 v[2:3], v[8:9], 2, v[2:3]
	s_wait_loadcnt 0x0
	v_mul_f32_e32 v4, v6, v7
	global_atomic_add_f32 v[2:3], v4, off scope:SCOPE_DEV
	s_wait_xcnt 0x0
	s_and_not1_b32 exec_lo, exec_lo, s8
	s_cbranch_execnz .LBB5_2
.LBB5_3:
	s_endpgm
	.section	.rodata,"a",@progbits
	.p2align	6, 0x0
	.amdhsa_kernel _Z12fp_preact_s1PA24_A24_fPA6_A6_fPA4_A4_f
		.amdhsa_group_segment_fixed_size 0
		.amdhsa_private_segment_fixed_size 0
		.amdhsa_kernarg_size 280
		.amdhsa_user_sgpr_count 2
		.amdhsa_user_sgpr_dispatch_ptr 0
		.amdhsa_user_sgpr_queue_ptr 0
		.amdhsa_user_sgpr_kernarg_segment_ptr 1
		.amdhsa_user_sgpr_dispatch_id 0
		.amdhsa_user_sgpr_kernarg_preload_length 0
		.amdhsa_user_sgpr_kernarg_preload_offset 0
		.amdhsa_user_sgpr_private_segment_size 0
		.amdhsa_wavefront_size32 1
		.amdhsa_uses_dynamic_stack 0
		.amdhsa_enable_private_segment 0
		.amdhsa_system_sgpr_workgroup_id_x 1
		.amdhsa_system_sgpr_workgroup_id_y 0
		.amdhsa_system_sgpr_workgroup_id_z 0
		.amdhsa_system_sgpr_workgroup_info 0
		.amdhsa_system_vgpr_workitem_id 0
		.amdhsa_next_free_vgpr 13
		.amdhsa_next_free_sgpr 9
		.amdhsa_named_barrier_count 0
		.amdhsa_reserve_vcc 1
		.amdhsa_float_round_mode_32 0
		.amdhsa_float_round_mode_16_64 0
		.amdhsa_float_denorm_mode_32 3
		.amdhsa_float_denorm_mode_16_64 3
		.amdhsa_fp16_overflow 0
		.amdhsa_memory_ordered 1
		.amdhsa_forward_progress 1
		.amdhsa_inst_pref_size 8
		.amdhsa_round_robin_scheduling 0
		.amdhsa_exception_fp_ieee_invalid_op 0
		.amdhsa_exception_fp_denorm_src 0
		.amdhsa_exception_fp_ieee_div_zero 0
		.amdhsa_exception_fp_ieee_overflow 0
		.amdhsa_exception_fp_ieee_underflow 0
		.amdhsa_exception_fp_ieee_inexact 0
		.amdhsa_exception_int_div_zero 0
	.end_amdhsa_kernel
	.text
.Lfunc_end5:
	.size	_Z12fp_preact_s1PA24_A24_fPA6_A6_fPA4_A4_f, .Lfunc_end5-_Z12fp_preact_s1PA24_A24_fPA6_A6_fPA4_A4_f
                                        ; -- End function
	.set _Z12fp_preact_s1PA24_A24_fPA6_A6_fPA4_A4_f.num_vgpr, 13
	.set _Z12fp_preact_s1PA24_A24_fPA6_A6_fPA4_A4_f.num_agpr, 0
	.set _Z12fp_preact_s1PA24_A24_fPA6_A6_fPA4_A4_f.numbered_sgpr, 9
	.set _Z12fp_preact_s1PA24_A24_fPA6_A6_fPA4_A4_f.num_named_barrier, 0
	.set _Z12fp_preact_s1PA24_A24_fPA6_A6_fPA4_A4_f.private_seg_size, 0
	.set _Z12fp_preact_s1PA24_A24_fPA6_A6_fPA4_A4_f.uses_vcc, 1
	.set _Z12fp_preact_s1PA24_A24_fPA6_A6_fPA4_A4_f.uses_flat_scratch, 0
	.set _Z12fp_preact_s1PA24_A24_fPA6_A6_fPA4_A4_f.has_dyn_sized_stack, 0
	.set _Z12fp_preact_s1PA24_A24_fPA6_A6_fPA4_A4_f.has_recursion, 0
	.set _Z12fp_preact_s1PA24_A24_fPA6_A6_fPA4_A4_f.has_indirect_call, 0
	.section	.AMDGPU.csdata,"",@progbits
; Kernel info:
; codeLenInByte = 948
; TotalNumSgprs: 11
; NumVgprs: 13
; ScratchSize: 0
; MemoryBound: 0
; FloatMode: 240
; IeeeMode: 1
; LDSByteSize: 0 bytes/workgroup (compile time only)
; SGPRBlocks: 0
; VGPRBlocks: 0
; NumSGPRsForWavesPerEU: 11
; NumVGPRsForWavesPerEU: 13
; NamedBarCnt: 0
; Occupancy: 16
; WaveLimiterHint : 0
; COMPUTE_PGM_RSRC2:SCRATCH_EN: 0
; COMPUTE_PGM_RSRC2:USER_SGPR: 2
; COMPUTE_PGM_RSRC2:TRAP_HANDLER: 0
; COMPUTE_PGM_RSRC2:TGID_X_EN: 1
; COMPUTE_PGM_RSRC2:TGID_Y_EN: 0
; COMPUTE_PGM_RSRC2:TGID_Z_EN: 0
; COMPUTE_PGM_RSRC2:TIDIG_COMP_CNT: 0
	.text
	.protected	_Z10fp_bias_s1PA6_A6_fPf ; -- Begin function _Z10fp_bias_s1PA6_A6_fPf
	.globl	_Z10fp_bias_s1PA6_A6_fPf
	.p2align	8
	.type	_Z10fp_bias_s1PA6_A6_fPf,@function
_Z10fp_bias_s1PA6_A6_fPf:               ; @_Z10fp_bias_s1PA6_A6_fPf
; %bb.0:
	s_clause 0x1
	s_load_b32 s2, s[0:1], 0x1c
	s_load_b32 s3, s[0:1], 0x10
	s_bfe_u32 s4, ttmp6, 0x4000c
	s_and_b32 s5, ttmp6, 15
	s_add_co_i32 s4, s4, 1
	s_getreg_b32 s6, hwreg(HW_REG_IB_STS2, 6, 4)
	s_mul_i32 s4, ttmp9, s4
	s_delay_alu instid0(SALU_CYCLE_1)
	s_add_co_i32 s5, s5, s4
	s_wait_kmcnt 0x0
	s_and_b32 s2, s2, 0xffff
	s_cmp_eq_u32 s6, 0
	s_mul_i32 s3, s3, s2
	s_cselect_b32 s4, ttmp9, s5
	s_abs_i32 s5, s3
	v_mad_u32 v0, s4, s2, v0
	s_cvt_f32_u32 s2, s5
	s_sub_co_i32 s4, 0, s5
	s_ashr_i32 s3, s3, 31
	s_delay_alu instid0(SALU_CYCLE_1) | instskip(NEXT) | instid1(VALU_DEP_1)
	v_rcp_iflag_f32_e32 v1, s2
	v_mul_lo_u32 v0, 0xd8, v0
	s_delay_alu instid0(TRANS32_DEP_1) | instskip(SKIP_1) | instid1(SALU_CYCLE_3)
	v_readfirstlane_b32 s2, v1
	s_mul_f32 s2, s2, 0x4f7ffffe
	s_cvt_u32_f32 s2, s2
	v_add_nc_u32_e32 v2, 0xd8, v0
	v_sub_nc_u32_e32 v3, 0xffffff28, v0
	v_sub_nc_u32_e32 v1, 0, v0
	s_mul_i32 s4, s4, s2
	s_delay_alu instid0(SALU_CYCLE_1) | instskip(NEXT) | instid1(VALU_DEP_2)
	s_mul_hi_u32 s4, s2, s4
	v_max_i32_e32 v3, v2, v3
	s_delay_alu instid0(VALU_DEP_2) | instskip(SKIP_2) | instid1(VALU_DEP_2)
	v_dual_ashrrev_i32 v0, 31, v0 :: v_dual_max_i32 v1, v0, v1
	s_add_co_i32 s2, s2, s4
	s_mov_b32 s4, 0
	v_mul_hi_u32 v5, v3, s2
	s_delay_alu instid0(VALU_DEP_2) | instskip(NEXT) | instid1(VALU_DEP_2)
	v_mul_hi_u32 v4, v1, s2
	v_mul_lo_u32 v7, v5, s5
	s_delay_alu instid0(VALU_DEP_2) | instskip(NEXT) | instid1(VALU_DEP_2)
	v_mul_lo_u32 v6, v4, s5
	v_dual_sub_nc_u32 v3, v3, v7 :: v_dual_bitop2_b32 v0, s3, v0 bitop3:0x14
	s_delay_alu instid0(VALU_DEP_2) | instskip(NEXT) | instid1(VALU_DEP_2)
	v_dual_sub_nc_u32 v1, v1, v6 :: v_dual_add_nc_u32 v6, 1, v4
	v_subrev_nc_u32_e32 v8, s5, v3
	s_delay_alu instid0(VALU_DEP_2) | instskip(SKIP_1) | instid1(VALU_DEP_4)
	v_cmp_le_u32_e32 vcc_lo, s5, v1
	v_cmp_le_u32_e64 s2, s5, v3
	v_cndmask_b32_e32 v4, v4, v6, vcc_lo
	v_subrev_nc_u32_e32 v6, s5, v1
	s_delay_alu instid0(VALU_DEP_1) | instskip(NEXT) | instid1(VALU_DEP_3)
	v_dual_cndmask_b32 v1, v1, v6, vcc_lo :: v_dual_add_nc_u32 v7, 1, v5
	v_dual_ashrrev_i32 v2, 31, v2 :: v_dual_add_nc_u32 v6, 1, v4
	s_delay_alu instid0(VALU_DEP_2) | instskip(NEXT) | instid1(VALU_DEP_3)
	v_cmp_le_u32_e32 vcc_lo, s5, v1
	v_dual_cndmask_b32 v5, v5, v7, s2 :: v_dual_cndmask_b32 v3, v3, v8, s2
	s_mov_b32 s2, exec_lo
	s_delay_alu instid0(VALU_DEP_1) | instskip(NEXT) | instid1(VALU_DEP_2)
	v_dual_cndmask_b32 v1, v4, v6, vcc_lo :: v_dual_add_nc_u32 v7, 1, v5
	v_cmp_le_u32_e32 vcc_lo, s5, v3
	v_xor_b32_e32 v2, s3, v2
	s_delay_alu instid0(VALU_DEP_3) | instskip(NEXT) | instid1(VALU_DEP_4)
	v_xor_b32_e32 v1, v1, v0
	v_cndmask_b32_e32 v3, v5, v7, vcc_lo
	s_delay_alu instid0(VALU_DEP_1) | instskip(NEXT) | instid1(VALU_DEP_1)
	v_dual_sub_nc_u32 v0, v1, v0 :: v_dual_bitop2_b32 v3, v3, v2 bitop3:0x14
	v_sub_nc_u32_e32 v1, v3, v2
	s_delay_alu instid0(VALU_DEP_1)
	v_cmpx_lt_i32_e64 v0, v1
	s_cbranch_execz .LBB6_3
; %bb.1:
	s_load_b128 s[0:3], s[0:1], 0x0
	v_mov_b32_e32 v2, 0
.LBB6_2:                                ; =>This Inner Loop Header: Depth=1
	v_mul_hi_i32 v3, 0x2aaaaaab, v0
	v_mul_hi_i32 v4, 0x38e38e39, v0
	s_delay_alu instid0(VALU_DEP_1) | instskip(NEXT) | instid1(VALU_DEP_1)
	v_dual_lshrrev_b32 v5, 31, v3 :: v_dual_lshrrev_b32 v6, 31, v4
	v_dual_ashrrev_i32 v4, 3, v4 :: v_dual_add_nc_u32 v3, v3, v5
	s_delay_alu instid0(VALU_DEP_1) | instskip(NEXT) | instid1(VALU_DEP_2)
	v_mul_hi_i32 v5, 0x2aaaaaab, v3
	v_add_nc_u32_e32 v6, v4, v6
	v_mad_u32 v8, v3, -6, v0
	v_add_nc_u32_e32 v0, 1, v0
	s_delay_alu instid0(VALU_DEP_1) | instskip(SKIP_3) | instid1(VALU_DEP_1)
	v_cmp_ge_i32_e32 vcc_lo, v0, v1
	v_lshrrev_b32_e32 v7, 31, v5
	v_mul_hi_i32 v4, 0x2aaaaaab, v6
	s_or_b32 s4, vcc_lo, s4
	v_dual_add_nc_u32 v5, v5, v7 :: v_dual_lshrrev_b32 v7, 31, v4
	s_delay_alu instid0(VALU_DEP_1) | instskip(NEXT) | instid1(VALU_DEP_2)
	v_mul_lo_u32 v9, v5, 6
	v_add_nc_u32_e32 v7, v4, v7
	s_wait_kmcnt 0x0
	v_mad_nc_i64_i32 v[4:5], 0x90, v8, s[0:1]
	s_delay_alu instid0(VALU_DEP_3) | instskip(NEXT) | instid1(VALU_DEP_3)
	v_sub_nc_u32_e32 v3, v3, v9
	v_mul_lo_u32 v7, v7, 6
	s_delay_alu instid0(VALU_DEP_2) | instskip(NEXT) | instid1(VALU_DEP_2)
	v_mad_nc_i64_i32 v[4:5], v3, 24, v[4:5]
	v_sub_nc_u32_e32 v6, v6, v7
	s_delay_alu instid0(VALU_DEP_1) | instskip(NEXT) | instid1(VALU_DEP_1)
	v_ashrrev_i32_e32 v7, 31, v6
	v_lshl_add_u64 v[4:5], v[6:7], 2, v[4:5]
	global_load_b32 v3, v2, s[2:3]
	global_load_b32 v6, v[4:5], off
	s_wait_loadcnt 0x0
	v_add_f32_e32 v3, v3, v6
	global_store_b32 v[4:5], v3, off
	s_wait_xcnt 0x0
	s_and_not1_b32 exec_lo, exec_lo, s4
	s_cbranch_execnz .LBB6_2
.LBB6_3:
	s_endpgm
	.section	.rodata,"a",@progbits
	.p2align	6, 0x0
	.amdhsa_kernel _Z10fp_bias_s1PA6_A6_fPf
		.amdhsa_group_segment_fixed_size 0
		.amdhsa_private_segment_fixed_size 0
		.amdhsa_kernarg_size 272
		.amdhsa_user_sgpr_count 2
		.amdhsa_user_sgpr_dispatch_ptr 0
		.amdhsa_user_sgpr_queue_ptr 0
		.amdhsa_user_sgpr_kernarg_segment_ptr 1
		.amdhsa_user_sgpr_dispatch_id 0
		.amdhsa_user_sgpr_kernarg_preload_length 0
		.amdhsa_user_sgpr_kernarg_preload_offset 0
		.amdhsa_user_sgpr_private_segment_size 0
		.amdhsa_wavefront_size32 1
		.amdhsa_uses_dynamic_stack 0
		.amdhsa_enable_private_segment 0
		.amdhsa_system_sgpr_workgroup_id_x 1
		.amdhsa_system_sgpr_workgroup_id_y 0
		.amdhsa_system_sgpr_workgroup_id_z 0
		.amdhsa_system_sgpr_workgroup_info 0
		.amdhsa_system_vgpr_workitem_id 0
		.amdhsa_next_free_vgpr 10
		.amdhsa_next_free_sgpr 7
		.amdhsa_named_barrier_count 0
		.amdhsa_reserve_vcc 1
		.amdhsa_float_round_mode_32 0
		.amdhsa_float_round_mode_16_64 0
		.amdhsa_float_denorm_mode_32 3
		.amdhsa_float_denorm_mode_16_64 3
		.amdhsa_fp16_overflow 0
		.amdhsa_memory_ordered 1
		.amdhsa_forward_progress 1
		.amdhsa_inst_pref_size 6
		.amdhsa_round_robin_scheduling 0
		.amdhsa_exception_fp_ieee_invalid_op 0
		.amdhsa_exception_fp_denorm_src 0
		.amdhsa_exception_fp_ieee_div_zero 0
		.amdhsa_exception_fp_ieee_overflow 0
		.amdhsa_exception_fp_ieee_underflow 0
		.amdhsa_exception_fp_ieee_inexact 0
		.amdhsa_exception_int_div_zero 0
	.end_amdhsa_kernel
	.text
.Lfunc_end6:
	.size	_Z10fp_bias_s1PA6_A6_fPf, .Lfunc_end6-_Z10fp_bias_s1PA6_A6_fPf
                                        ; -- End function
	.set _Z10fp_bias_s1PA6_A6_fPf.num_vgpr, 10
	.set _Z10fp_bias_s1PA6_A6_fPf.num_agpr, 0
	.set _Z10fp_bias_s1PA6_A6_fPf.numbered_sgpr, 7
	.set _Z10fp_bias_s1PA6_A6_fPf.num_named_barrier, 0
	.set _Z10fp_bias_s1PA6_A6_fPf.private_seg_size, 0
	.set _Z10fp_bias_s1PA6_A6_fPf.uses_vcc, 1
	.set _Z10fp_bias_s1PA6_A6_fPf.uses_flat_scratch, 0
	.set _Z10fp_bias_s1PA6_A6_fPf.has_dyn_sized_stack, 0
	.set _Z10fp_bias_s1PA6_A6_fPf.has_recursion, 0
	.set _Z10fp_bias_s1PA6_A6_fPf.has_indirect_call, 0
	.section	.AMDGPU.csdata,"",@progbits
; Kernel info:
; codeLenInByte = 696
; TotalNumSgprs: 9
; NumVgprs: 10
; ScratchSize: 0
; MemoryBound: 0
; FloatMode: 240
; IeeeMode: 1
; LDSByteSize: 0 bytes/workgroup (compile time only)
; SGPRBlocks: 0
; VGPRBlocks: 0
; NumSGPRsForWavesPerEU: 9
; NumVGPRsForWavesPerEU: 10
; NamedBarCnt: 0
; Occupancy: 16
; WaveLimiterHint : 0
; COMPUTE_PGM_RSRC2:SCRATCH_EN: 0
; COMPUTE_PGM_RSRC2:USER_SGPR: 2
; COMPUTE_PGM_RSRC2:TRAP_HANDLER: 0
; COMPUTE_PGM_RSRC2:TGID_X_EN: 1
; COMPUTE_PGM_RSRC2:TGID_Y_EN: 0
; COMPUTE_PGM_RSRC2:TGID_Z_EN: 0
; COMPUTE_PGM_RSRC2:TIDIG_COMP_CNT: 0
	.text
	.protected	_Z11fp_preact_fPA6_A6_fPfPA6_S0_ ; -- Begin function _Z11fp_preact_fPA6_A6_fPfPA6_S0_
	.globl	_Z11fp_preact_fPA6_A6_fPfPA6_S0_
	.p2align	8
	.type	_Z11fp_preact_fPA6_A6_fPfPA6_S0_,@function
_Z11fp_preact_fPA6_A6_fPfPA6_S0_:       ; @_Z11fp_preact_fPA6_A6_fPfPA6_S0_
; %bb.0:
	s_clause 0x1
	s_load_b32 s2, s[0:1], 0x24
	s_load_b32 s3, s[0:1], 0x18
	s_bfe_u32 s4, ttmp6, 0x4000c
	s_and_b32 s5, ttmp6, 15
	s_add_co_i32 s4, s4, 1
	s_getreg_b32 s6, hwreg(HW_REG_IB_STS2, 6, 4)
	s_mul_i32 s4, ttmp9, s4
	s_mov_b32 s8, 0
	s_add_co_i32 s5, s5, s4
	s_wait_kmcnt 0x0
	s_and_b32 s2, s2, 0xffff
	s_cmp_eq_u32 s6, 0
	s_mul_i32 s3, s3, s2
	s_cselect_b32 s4, ttmp9, s5
	s_abs_i32 s5, s3
	v_mad_u32 v0, s4, s2, v0
	s_cvt_f32_u32 s2, s5
	s_sub_co_i32 s4, 0, s5
	s_ashr_i32 s3, s3, 31
	s_delay_alu instid0(SALU_CYCLE_1) | instskip(NEXT) | instid1(VALU_DEP_1)
	v_rcp_iflag_f32_e32 v1, s2
	v_mul_lo_u32 v0, 0x870, v0
	s_delay_alu instid0(TRANS32_DEP_1) | instskip(SKIP_1) | instid1(SALU_CYCLE_3)
	v_readfirstlane_b32 s2, v1
	s_mul_f32 s2, s2, 0x4f7ffffe
	s_cvt_u32_f32 s2, s2
	v_add_nc_u32_e32 v2, 0x870, v0
	v_sub_nc_u32_e32 v3, 0xfffff790, v0
	v_sub_nc_u32_e32 v1, 0, v0
	s_mul_i32 s4, s4, s2
	s_delay_alu instid0(SALU_CYCLE_1) | instskip(NEXT) | instid1(VALU_DEP_2)
	s_mul_hi_u32 s4, s2, s4
	v_max_i32_e32 v3, v2, v3
	s_delay_alu instid0(VALU_DEP_2)
	v_dual_ashrrev_i32 v0, 31, v0 :: v_dual_max_i32 v1, v0, v1
	s_add_co_i32 s2, s2, s4
	s_delay_alu instid0(VALU_DEP_2) | instid1(SALU_CYCLE_1)
	v_mul_hi_u32 v5, v3, s2
	s_delay_alu instid0(VALU_DEP_2) | instskip(NEXT) | instid1(VALU_DEP_2)
	v_mul_hi_u32 v4, v1, s2
	v_mul_lo_u32 v7, v5, s5
	s_delay_alu instid0(VALU_DEP_2) | instskip(NEXT) | instid1(VALU_DEP_2)
	v_mul_lo_u32 v6, v4, s5
	v_dual_sub_nc_u32 v3, v3, v7 :: v_dual_bitop2_b32 v0, s3, v0 bitop3:0x14
	s_delay_alu instid0(VALU_DEP_2) | instskip(NEXT) | instid1(VALU_DEP_2)
	v_dual_sub_nc_u32 v1, v1, v6 :: v_dual_add_nc_u32 v6, 1, v4
	v_subrev_nc_u32_e32 v8, s5, v3
	s_delay_alu instid0(VALU_DEP_2) | instskip(SKIP_1) | instid1(VALU_DEP_4)
	v_cmp_le_u32_e32 vcc_lo, s5, v1
	v_cmp_le_u32_e64 s2, s5, v3
	v_cndmask_b32_e32 v4, v4, v6, vcc_lo
	v_subrev_nc_u32_e32 v6, s5, v1
	s_delay_alu instid0(VALU_DEP_1) | instskip(NEXT) | instid1(VALU_DEP_3)
	v_dual_cndmask_b32 v1, v1, v6, vcc_lo :: v_dual_add_nc_u32 v7, 1, v5
	v_dual_ashrrev_i32 v2, 31, v2 :: v_dual_add_nc_u32 v6, 1, v4
	s_delay_alu instid0(VALU_DEP_2) | instskip(NEXT) | instid1(VALU_DEP_3)
	v_cmp_le_u32_e32 vcc_lo, s5, v1
	v_dual_cndmask_b32 v5, v5, v7, s2 :: v_dual_cndmask_b32 v3, v3, v8, s2
	s_mov_b32 s2, exec_lo
	s_delay_alu instid0(VALU_DEP_1) | instskip(NEXT) | instid1(VALU_DEP_2)
	v_dual_cndmask_b32 v1, v4, v6, vcc_lo :: v_dual_add_nc_u32 v7, 1, v5
	v_cmp_le_u32_e32 vcc_lo, s5, v3
	v_xor_b32_e32 v2, s3, v2
	s_delay_alu instid0(VALU_DEP_3) | instskip(NEXT) | instid1(VALU_DEP_4)
	v_xor_b32_e32 v1, v1, v0
	v_cndmask_b32_e32 v3, v5, v7, vcc_lo
	s_delay_alu instid0(VALU_DEP_1) | instskip(NEXT) | instid1(VALU_DEP_1)
	v_dual_sub_nc_u32 v0, v1, v0 :: v_dual_bitop2_b32 v3, v3, v2 bitop3:0x14
	v_sub_nc_u32_e32 v1, v3, v2
	s_delay_alu instid0(VALU_DEP_1)
	v_cmpx_lt_i32_e64 v0, v1
	s_cbranch_execz .LBB7_3
; %bb.1:
	s_clause 0x1
	s_load_b128 s[4:7], s[0:1], 0x0
	s_load_b64 s[2:3], s[0:1], 0x10
.LBB7_2:                                ; =>This Inner Loop Header: Depth=1
	v_mul_hi_i32 v2, 0x66666667, v0
	v_mul_hi_i32 v3, 0xb60b60b7, v0
	;; [unrolled: 1-line block ×3, first 2 shown]
	s_delay_alu instid0(VALU_DEP_3) | instskip(NEXT) | instid1(VALU_DEP_2)
	v_dual_lshrrev_b32 v5, 31, v2 :: v_dual_ashrrev_i32 v2, 2, v2
	v_dual_add_nc_u32 v4, v4, v0 :: v_dual_add_nc_u32 v3, v3, v0
	s_delay_alu instid0(VALU_DEP_1) | instskip(NEXT) | instid1(VALU_DEP_2)
	v_dual_add_nc_u32 v5, v2, v5 :: v_dual_lshrrev_b32 v2, 31, v4
	v_dual_ashrrev_i32 v4, 5, v4 :: v_dual_lshrrev_b32 v6, 31, v3
	v_ashrrev_i32_e32 v3, 8, v3
	s_delay_alu instid0(VALU_DEP_3) | instskip(SKIP_1) | instid1(VALU_DEP_4)
	v_mul_hi_i32 v7, 0x2aaaaaab, v5
	v_mad_u32 v8, v5, -10, v0
	v_dual_add_nc_u32 v9, v4, v2 :: v_dual_add_nc_u32 v0, 1, v0
	s_delay_alu instid0(VALU_DEP_4) | instskip(NEXT) | instid1(VALU_DEP_2)
	v_add_nc_u32_e32 v6, v3, v6
	v_mul_hi_i32 v10, 0x2aaaaaab, v9
	s_delay_alu instid0(VALU_DEP_3) | instskip(SKIP_1) | instid1(VALU_DEP_4)
	v_cmp_ge_i32_e32 vcc_lo, v0, v1
	v_lshrrev_b32_e32 v11, 31, v7
	v_mul_hi_i32 v4, 0x2aaaaaab, v6
	s_wait_kmcnt 0x0
	v_mad_nc_i64_i32 v[2:3], 0x360, v8, s[2:3]
	s_or_b32 s8, vcc_lo, s8
	s_delay_alu instid0(VALU_DEP_2) | instskip(NEXT) | instid1(VALU_DEP_1)
	v_dual_add_nc_u32 v7, v7, v11 :: v_dual_lshrrev_b32 v11, 31, v4
	v_mul_lo_u32 v7, v7, 6
	s_delay_alu instid0(VALU_DEP_2) | instskip(NEXT) | instid1(VALU_DEP_1)
	v_dual_lshrrev_b32 v12, 31, v10 :: v_dual_add_nc_u32 v4, v4, v11
	v_add_nc_u32_e32 v10, v10, v12
	s_delay_alu instid0(VALU_DEP_2) | instskip(NEXT) | instid1(VALU_DEP_4)
	v_mul_lo_u32 v11, v4, 6
	v_sub_nc_u32_e32 v4, v5, v7
	s_delay_alu instid0(VALU_DEP_3) | instskip(NEXT) | instid1(VALU_DEP_2)
	v_mul_lo_u32 v10, v10, 6
	v_mad_nc_i64_i32 v[2:3], 0x90, v4, v[2:3]
	v_mad_nc_i64_i32 v[4:5], 0x90, v4, s[4:5]
	s_delay_alu instid0(VALU_DEP_3) | instskip(NEXT) | instid1(VALU_DEP_1)
	v_dual_sub_nc_u32 v6, v6, v11 :: v_dual_sub_nc_u32 v9, v9, v10
	v_ashrrev_i32_e32 v7, 31, v6
	s_delay_alu instid0(VALU_DEP_2) | instskip(NEXT) | instid1(VALU_DEP_4)
	v_mad_nc_i64_i32 v[2:3], v9, 24, v[2:3]
	v_mad_nc_i64_i32 v[4:5], v9, 24, v[4:5]
	s_delay_alu instid0(VALU_DEP_3) | instskip(NEXT) | instid1(VALU_DEP_1)
	v_lshlrev_b64_e32 v[6:7], 2, v[6:7]
	v_add_nc_u64_e32 v[2:3], v[2:3], v[6:7]
	s_delay_alu instid0(VALU_DEP_3)
	v_add_nc_u64_e32 v[4:5], v[4:5], v[6:7]
	global_load_b32 v6, v[2:3], off
	global_load_b32 v7, v[4:5], off
	s_wait_loadcnt 0x0
	s_wait_xcnt 0x1
	v_mul_f32_e32 v2, v6, v7
	global_atomic_add_f32 v8, v2, s[6:7] scale_offset scope:SCOPE_DEV
	s_wait_xcnt 0x0
	s_and_not1_b32 exec_lo, exec_lo, s8
	s_cbranch_execnz .LBB7_2
.LBB7_3:
	s_endpgm
	.section	.rodata,"a",@progbits
	.p2align	6, 0x0
	.amdhsa_kernel _Z11fp_preact_fPA6_A6_fPfPA6_S0_
		.amdhsa_group_segment_fixed_size 0
		.amdhsa_private_segment_fixed_size 0
		.amdhsa_kernarg_size 280
		.amdhsa_user_sgpr_count 2
		.amdhsa_user_sgpr_dispatch_ptr 0
		.amdhsa_user_sgpr_queue_ptr 0
		.amdhsa_user_sgpr_kernarg_segment_ptr 1
		.amdhsa_user_sgpr_dispatch_id 0
		.amdhsa_user_sgpr_kernarg_preload_length 0
		.amdhsa_user_sgpr_kernarg_preload_offset 0
		.amdhsa_user_sgpr_private_segment_size 0
		.amdhsa_wavefront_size32 1
		.amdhsa_uses_dynamic_stack 0
		.amdhsa_enable_private_segment 0
		.amdhsa_system_sgpr_workgroup_id_x 1
		.amdhsa_system_sgpr_workgroup_id_y 0
		.amdhsa_system_sgpr_workgroup_id_z 0
		.amdhsa_system_sgpr_workgroup_info 0
		.amdhsa_system_vgpr_workitem_id 0
		.amdhsa_next_free_vgpr 13
		.amdhsa_next_free_sgpr 9
		.amdhsa_named_barrier_count 0
		.amdhsa_reserve_vcc 1
		.amdhsa_float_round_mode_32 0
		.amdhsa_float_round_mode_16_64 0
		.amdhsa_float_denorm_mode_32 3
		.amdhsa_float_denorm_mode_16_64 3
		.amdhsa_fp16_overflow 0
		.amdhsa_memory_ordered 1
		.amdhsa_forward_progress 1
		.amdhsa_inst_pref_size 7
		.amdhsa_round_robin_scheduling 0
		.amdhsa_exception_fp_ieee_invalid_op 0
		.amdhsa_exception_fp_denorm_src 0
		.amdhsa_exception_fp_ieee_div_zero 0
		.amdhsa_exception_fp_ieee_overflow 0
		.amdhsa_exception_fp_ieee_underflow 0
		.amdhsa_exception_fp_ieee_inexact 0
		.amdhsa_exception_int_div_zero 0
	.end_amdhsa_kernel
	.text
.Lfunc_end7:
	.size	_Z11fp_preact_fPA6_A6_fPfPA6_S0_, .Lfunc_end7-_Z11fp_preact_fPA6_A6_fPfPA6_S0_
                                        ; -- End function
	.set _Z11fp_preact_fPA6_A6_fPfPA6_S0_.num_vgpr, 13
	.set _Z11fp_preact_fPA6_A6_fPfPA6_S0_.num_agpr, 0
	.set _Z11fp_preact_fPA6_A6_fPfPA6_S0_.numbered_sgpr, 9
	.set _Z11fp_preact_fPA6_A6_fPfPA6_S0_.num_named_barrier, 0
	.set _Z11fp_preact_fPA6_A6_fPfPA6_S0_.private_seg_size, 0
	.set _Z11fp_preact_fPA6_A6_fPfPA6_S0_.uses_vcc, 1
	.set _Z11fp_preact_fPA6_A6_fPfPA6_S0_.uses_flat_scratch, 0
	.set _Z11fp_preact_fPA6_A6_fPfPA6_S0_.has_dyn_sized_stack, 0
	.set _Z11fp_preact_fPA6_A6_fPfPA6_S0_.has_recursion, 0
	.set _Z11fp_preact_fPA6_A6_fPfPA6_S0_.has_indirect_call, 0
	.section	.AMDGPU.csdata,"",@progbits
; Kernel info:
; codeLenInByte = 856
; TotalNumSgprs: 11
; NumVgprs: 13
; ScratchSize: 0
; MemoryBound: 0
; FloatMode: 240
; IeeeMode: 1
; LDSByteSize: 0 bytes/workgroup (compile time only)
; SGPRBlocks: 0
; VGPRBlocks: 0
; NumSGPRsForWavesPerEU: 11
; NumVGPRsForWavesPerEU: 13
; NamedBarCnt: 0
; Occupancy: 16
; WaveLimiterHint : 0
; COMPUTE_PGM_RSRC2:SCRATCH_EN: 0
; COMPUTE_PGM_RSRC2:USER_SGPR: 2
; COMPUTE_PGM_RSRC2:TRAP_HANDLER: 0
; COMPUTE_PGM_RSRC2:TGID_X_EN: 1
; COMPUTE_PGM_RSRC2:TGID_Y_EN: 0
; COMPUTE_PGM_RSRC2:TGID_Z_EN: 0
; COMPUTE_PGM_RSRC2:TIDIG_COMP_CNT: 0
	.text
	.protected	_Z9fp_bias_fPfS_        ; -- Begin function _Z9fp_bias_fPfS_
	.globl	_Z9fp_bias_fPfS_
	.p2align	8
	.type	_Z9fp_bias_fPfS_,@function
_Z9fp_bias_fPfS_:                       ; @_Z9fp_bias_fPfS_
; %bb.0:
	s_clause 0x1
	s_load_b32 s2, s[0:1], 0x1c
	s_load_b32 s3, s[0:1], 0x10
	s_bfe_u32 s4, ttmp6, 0x4000c
	s_and_b32 s5, ttmp6, 15
	s_add_co_i32 s4, s4, 1
	s_getreg_b32 s6, hwreg(HW_REG_IB_STS2, 6, 4)
	s_mul_i32 s4, ttmp9, s4
	s_delay_alu instid0(SALU_CYCLE_1)
	s_add_co_i32 s5, s5, s4
	s_wait_kmcnt 0x0
	s_and_b32 s2, s2, 0xffff
	s_cmp_eq_u32 s6, 0
	s_mul_i32 s3, s3, s2
	s_cselect_b32 s4, ttmp9, s5
	s_abs_i32 s5, s3
	v_mad_u32 v0, s4, s2, v0
	s_cvt_f32_u32 s2, s5
	s_sub_co_i32 s4, 0, s5
	s_ashr_i32 s3, s3, 31
	s_delay_alu instid0(SALU_CYCLE_1) | instskip(NEXT) | instid1(VALU_DEP_1)
	v_rcp_iflag_f32_e32 v1, s2
	v_mul_lo_u32 v0, v0, 10
	s_delay_alu instid0(TRANS32_DEP_1) | instskip(SKIP_1) | instid1(SALU_CYCLE_3)
	v_readfirstlane_b32 s2, v1
	s_mul_f32 s2, s2, 0x4f7ffffe
	s_cvt_u32_f32 s2, s2
	v_dual_sub_nc_u32 v1, 0, v0 :: v_dual_add_nc_u32 v2, 10, v0
	v_sub_nc_u32_e32 v3, -10, v0
	s_delay_alu instid0(SALU_CYCLE_1) | instskip(NEXT) | instid1(VALU_DEP_2)
	s_mul_i32 s4, s4, s2
	v_max_i32_e32 v1, v0, v1
	s_mul_hi_u32 s4, s2, s4
	s_delay_alu instid0(VALU_DEP_2) | instskip(SKIP_3) | instid1(VALU_DEP_3)
	v_dual_ashrrev_i32 v0, 31, v0 :: v_dual_max_i32 v3, v2, v3
	s_add_co_i32 s2, s2, s4
	v_ashrrev_i32_e32 v2, 31, v2
	v_mul_hi_u32 v4, v1, s2
	v_mul_hi_u32 v5, v3, s2
	s_delay_alu instid0(VALU_DEP_2) | instskip(NEXT) | instid1(VALU_DEP_2)
	v_mul_lo_u32 v6, v4, s5
	v_mul_lo_u32 v7, v5, s5
	s_delay_alu instid0(VALU_DEP_2) | instskip(NEXT) | instid1(VALU_DEP_2)
	v_dual_sub_nc_u32 v1, v1, v6 :: v_dual_bitop2_b32 v0, s3, v0 bitop3:0x14
	v_dual_add_nc_u32 v6, 1, v4 :: v_dual_sub_nc_u32 v3, v3, v7
	s_delay_alu instid0(VALU_DEP_2) | instskip(SKIP_1) | instid1(VALU_DEP_3)
	v_cmp_le_u32_e32 vcc_lo, s5, v1
	v_add_nc_u32_e32 v7, 1, v5
	v_subrev_nc_u32_e32 v8, s5, v3
	v_cmp_le_u32_e64 s2, s5, v3
	v_cndmask_b32_e32 v4, v4, v6, vcc_lo
	v_subrev_nc_u32_e32 v6, s5, v1
	s_delay_alu instid0(VALU_DEP_3) | instskip(SKIP_1) | instid1(VALU_DEP_2)
	v_dual_cndmask_b32 v5, v5, v7, s2 :: v_dual_cndmask_b32 v3, v3, v8, s2
	s_mov_b32 s2, 0
	v_dual_cndmask_b32 v1, v1, v6 :: v_dual_add_nc_u32 v6, 1, v4
	s_delay_alu instid0(VALU_DEP_2) | instskip(NEXT) | instid1(VALU_DEP_2)
	v_add_nc_u32_e32 v7, 1, v5
	v_cmp_le_u32_e32 vcc_lo, s5, v1
	s_delay_alu instid0(VALU_DEP_3) | instskip(SKIP_4) | instid1(VALU_DEP_1)
	v_cndmask_b32_e32 v1, v4, v6, vcc_lo
	v_cmp_le_u32_e32 vcc_lo, s5, v3
	v_xor_b32_e32 v2, s3, v2
	s_mov_b32 s3, exec_lo
	v_cndmask_b32_e32 v3, v5, v7, vcc_lo
	v_xor_b32_e32 v3, v3, v2
	s_delay_alu instid0(VALU_DEP_1) | instskip(NEXT) | instid1(VALU_DEP_1)
	v_dual_sub_nc_u32 v6, v3, v2 :: v_dual_bitop2_b32 v1, v1, v0 bitop3:0x14
	v_sub_nc_u32_e32 v0, v1, v0
	s_delay_alu instid0(VALU_DEP_1)
	v_cmpx_lt_i32_e64 v0, v6
	s_cbranch_execz .LBB8_3
; %bb.1:
	s_load_b128 s[4:7], s[0:1], 0x0
	v_ashrrev_i32_e32 v1, 31, v0
	s_delay_alu instid0(VALU_DEP_1) | instskip(SKIP_1) | instid1(VALU_DEP_1)
	v_lshlrev_b64_e32 v[4:5], 2, v[0:1]
	s_wait_kmcnt 0x0
	v_add_nc_u64_e32 v[2:3], s[6:7], v[4:5]
	v_add_nc_u64_e32 v[4:5], s[4:5], v[4:5]
.LBB8_2:                                ; =>This Inner Loop Header: Depth=1
	global_load_b32 v1, v[2:3], off
	global_load_b32 v7, v[4:5], off
	v_add_nc_u32_e32 v0, 1, v0
	s_wait_xcnt 0x1
	v_add_nc_u64_e32 v[2:3], 4, v[2:3]
	s_wait_loadcnt 0x0
	v_add_f32_e32 v1, v1, v7
	v_cmp_ge_i32_e32 vcc_lo, v0, v6
	global_store_b32 v[4:5], v1, off
	s_wait_xcnt 0x0
	v_add_nc_u64_e32 v[4:5], 4, v[4:5]
	s_or_b32 s2, vcc_lo, s2
	s_delay_alu instid0(SALU_CYCLE_1)
	s_and_not1_b32 exec_lo, exec_lo, s2
	s_cbranch_execnz .LBB8_2
.LBB8_3:
	s_endpgm
	.section	.rodata,"a",@progbits
	.p2align	6, 0x0
	.amdhsa_kernel _Z9fp_bias_fPfS_
		.amdhsa_group_segment_fixed_size 0
		.amdhsa_private_segment_fixed_size 0
		.amdhsa_kernarg_size 272
		.amdhsa_user_sgpr_count 2
		.amdhsa_user_sgpr_dispatch_ptr 0
		.amdhsa_user_sgpr_queue_ptr 0
		.amdhsa_user_sgpr_kernarg_segment_ptr 1
		.amdhsa_user_sgpr_dispatch_id 0
		.amdhsa_user_sgpr_kernarg_preload_length 0
		.amdhsa_user_sgpr_kernarg_preload_offset 0
		.amdhsa_user_sgpr_private_segment_size 0
		.amdhsa_wavefront_size32 1
		.amdhsa_uses_dynamic_stack 0
		.amdhsa_enable_private_segment 0
		.amdhsa_system_sgpr_workgroup_id_x 1
		.amdhsa_system_sgpr_workgroup_id_y 0
		.amdhsa_system_sgpr_workgroup_id_z 0
		.amdhsa_system_sgpr_workgroup_info 0
		.amdhsa_system_vgpr_workitem_id 0
		.amdhsa_next_free_vgpr 9
		.amdhsa_next_free_sgpr 8
		.amdhsa_named_barrier_count 0
		.amdhsa_reserve_vcc 1
		.amdhsa_float_round_mode_32 0
		.amdhsa_float_round_mode_16_64 0
		.amdhsa_float_denorm_mode_32 3
		.amdhsa_float_denorm_mode_16_64 3
		.amdhsa_fp16_overflow 0
		.amdhsa_memory_ordered 1
		.amdhsa_forward_progress 1
		.amdhsa_inst_pref_size 4
		.amdhsa_round_robin_scheduling 0
		.amdhsa_exception_fp_ieee_invalid_op 0
		.amdhsa_exception_fp_denorm_src 0
		.amdhsa_exception_fp_ieee_div_zero 0
		.amdhsa_exception_fp_ieee_overflow 0
		.amdhsa_exception_fp_ieee_underflow 0
		.amdhsa_exception_fp_ieee_inexact 0
		.amdhsa_exception_int_div_zero 0
	.end_amdhsa_kernel
	.text
.Lfunc_end8:
	.size	_Z9fp_bias_fPfS_, .Lfunc_end8-_Z9fp_bias_fPfS_
                                        ; -- End function
	.set _Z9fp_bias_fPfS_.num_vgpr, 9
	.set _Z9fp_bias_fPfS_.num_agpr, 0
	.set _Z9fp_bias_fPfS_.numbered_sgpr, 8
	.set _Z9fp_bias_fPfS_.num_named_barrier, 0
	.set _Z9fp_bias_fPfS_.private_seg_size, 0
	.set _Z9fp_bias_fPfS_.uses_vcc, 1
	.set _Z9fp_bias_fPfS_.uses_flat_scratch, 0
	.set _Z9fp_bias_fPfS_.has_dyn_sized_stack, 0
	.set _Z9fp_bias_fPfS_.has_recursion, 0
	.set _Z9fp_bias_fPfS_.has_indirect_call, 0
	.section	.AMDGPU.csdata,"",@progbits
; Kernel info:
; codeLenInByte = 512
; TotalNumSgprs: 10
; NumVgprs: 9
; ScratchSize: 0
; MemoryBound: 0
; FloatMode: 240
; IeeeMode: 1
; LDSByteSize: 0 bytes/workgroup (compile time only)
; SGPRBlocks: 0
; VGPRBlocks: 0
; NumSGPRsForWavesPerEU: 10
; NumVGPRsForWavesPerEU: 9
; NamedBarCnt: 0
; Occupancy: 16
; WaveLimiterHint : 0
; COMPUTE_PGM_RSRC2:SCRATCH_EN: 0
; COMPUTE_PGM_RSRC2:USER_SGPR: 2
; COMPUTE_PGM_RSRC2:TRAP_HANDLER: 0
; COMPUTE_PGM_RSRC2:TGID_X_EN: 1
; COMPUTE_PGM_RSRC2:TGID_Y_EN: 0
; COMPUTE_PGM_RSRC2:TGID_Z_EN: 0
; COMPUTE_PGM_RSRC2:TIDIG_COMP_CNT: 0
	.text
	.protected	_Z11bp_weight_fPA6_A6_A6_fPfPS0_ ; -- Begin function _Z11bp_weight_fPA6_A6_A6_fPfPS0_
	.globl	_Z11bp_weight_fPA6_A6_A6_fPfPS0_
	.p2align	8
	.type	_Z11bp_weight_fPA6_A6_A6_fPfPS0_,@function
_Z11bp_weight_fPA6_A6_A6_fPfPS0_:       ; @_Z11bp_weight_fPA6_A6_A6_fPfPS0_
; %bb.0:
	s_clause 0x1
	s_load_b32 s2, s[0:1], 0x24
	s_load_b32 s3, s[0:1], 0x18
	s_bfe_u32 s4, ttmp6, 0x4000c
	s_and_b32 s5, ttmp6, 15
	s_add_co_i32 s4, s4, 1
	s_getreg_b32 s6, hwreg(HW_REG_IB_STS2, 6, 4)
	s_mul_i32 s4, ttmp9, s4
	s_mov_b32 s8, 0
	s_add_co_i32 s5, s5, s4
	s_wait_kmcnt 0x0
	s_and_b32 s2, s2, 0xffff
	s_cmp_eq_u32 s6, 0
	s_mul_i32 s3, s3, s2
	s_cselect_b32 s4, ttmp9, s5
	s_abs_i32 s5, s3
	v_mad_u32 v0, s4, s2, v0
	s_cvt_f32_u32 s2, s5
	s_sub_co_i32 s4, 0, s5
	s_ashr_i32 s3, s3, 31
	s_delay_alu instid0(SALU_CYCLE_1) | instskip(NEXT) | instid1(VALU_DEP_1)
	v_rcp_iflag_f32_e32 v1, s2
	v_mul_lo_u32 v0, 0x870, v0
	s_delay_alu instid0(TRANS32_DEP_1) | instskip(SKIP_1) | instid1(SALU_CYCLE_3)
	v_readfirstlane_b32 s2, v1
	s_mul_f32 s2, s2, 0x4f7ffffe
	s_cvt_u32_f32 s2, s2
	v_add_nc_u32_e32 v2, 0x870, v0
	v_sub_nc_u32_e32 v3, 0xfffff790, v0
	v_sub_nc_u32_e32 v1, 0, v0
	s_mul_i32 s4, s4, s2
	s_delay_alu instid0(SALU_CYCLE_1) | instskip(NEXT) | instid1(VALU_DEP_2)
	s_mul_hi_u32 s4, s2, s4
	v_max_i32_e32 v3, v2, v3
	s_delay_alu instid0(VALU_DEP_2)
	v_dual_ashrrev_i32 v0, 31, v0 :: v_dual_max_i32 v1, v0, v1
	s_add_co_i32 s2, s2, s4
	s_delay_alu instid0(VALU_DEP_2) | instid1(SALU_CYCLE_1)
	v_mul_hi_u32 v5, v3, s2
	s_delay_alu instid0(VALU_DEP_2) | instskip(NEXT) | instid1(VALU_DEP_2)
	v_mul_hi_u32 v4, v1, s2
	v_mul_lo_u32 v7, v5, s5
	s_delay_alu instid0(VALU_DEP_2) | instskip(NEXT) | instid1(VALU_DEP_2)
	v_mul_lo_u32 v6, v4, s5
	v_dual_sub_nc_u32 v3, v3, v7 :: v_dual_bitop2_b32 v0, s3, v0 bitop3:0x14
	s_delay_alu instid0(VALU_DEP_2) | instskip(NEXT) | instid1(VALU_DEP_2)
	v_dual_sub_nc_u32 v1, v1, v6 :: v_dual_add_nc_u32 v6, 1, v4
	v_subrev_nc_u32_e32 v8, s5, v3
	s_delay_alu instid0(VALU_DEP_2) | instskip(SKIP_1) | instid1(VALU_DEP_4)
	v_cmp_le_u32_e32 vcc_lo, s5, v1
	v_cmp_le_u32_e64 s2, s5, v3
	v_cndmask_b32_e32 v4, v4, v6, vcc_lo
	v_subrev_nc_u32_e32 v6, s5, v1
	s_delay_alu instid0(VALU_DEP_1) | instskip(NEXT) | instid1(VALU_DEP_3)
	v_dual_cndmask_b32 v1, v1, v6, vcc_lo :: v_dual_add_nc_u32 v7, 1, v5
	v_dual_ashrrev_i32 v2, 31, v2 :: v_dual_add_nc_u32 v6, 1, v4
	s_delay_alu instid0(VALU_DEP_2) | instskip(NEXT) | instid1(VALU_DEP_3)
	v_cmp_le_u32_e32 vcc_lo, s5, v1
	v_dual_cndmask_b32 v5, v5, v7, s2 :: v_dual_cndmask_b32 v3, v3, v8, s2
	s_mov_b32 s2, exec_lo
	s_delay_alu instid0(VALU_DEP_1) | instskip(NEXT) | instid1(VALU_DEP_2)
	v_dual_cndmask_b32 v1, v4, v6, vcc_lo :: v_dual_add_nc_u32 v7, 1, v5
	v_cmp_le_u32_e32 vcc_lo, s5, v3
	v_xor_b32_e32 v2, s3, v2
	s_delay_alu instid0(VALU_DEP_3) | instskip(NEXT) | instid1(VALU_DEP_4)
	v_xor_b32_e32 v1, v1, v0
	v_cndmask_b32_e32 v3, v5, v7, vcc_lo
	s_delay_alu instid0(VALU_DEP_1) | instskip(NEXT) | instid1(VALU_DEP_1)
	v_dual_sub_nc_u32 v0, v1, v0 :: v_dual_bitop2_b32 v3, v3, v2 bitop3:0x14
	v_sub_nc_u32_e32 v1, v3, v2
	s_delay_alu instid0(VALU_DEP_1)
	v_cmpx_lt_i32_e64 v0, v1
	s_cbranch_execz .LBB9_3
; %bb.1:
	s_clause 0x1
	s_load_b128 s[4:7], s[0:1], 0x0
	s_load_b64 s[2:3], s[0:1], 0x10
.LBB9_2:                                ; =>This Inner Loop Header: Depth=1
	v_mul_hi_i32 v2, 0x66666667, v0
	v_mul_hi_i32 v3, 0xb60b60b7, v0
	;; [unrolled: 1-line block ×3, first 2 shown]
	s_delay_alu instid0(VALU_DEP_3) | instskip(NEXT) | instid1(VALU_DEP_2)
	v_dual_lshrrev_b32 v5, 31, v2 :: v_dual_ashrrev_i32 v2, 2, v2
	v_dual_add_nc_u32 v4, v4, v0 :: v_dual_add_nc_u32 v3, v3, v0
	s_delay_alu instid0(VALU_DEP_1) | instskip(NEXT) | instid1(VALU_DEP_2)
	v_dual_add_nc_u32 v6, v2, v5 :: v_dual_lshrrev_b32 v2, 31, v4
	v_dual_lshrrev_b32 v5, 31, v3 :: v_dual_ashrrev_i32 v3, 8, v3
	v_ashrrev_i32_e32 v4, 5, v4
	s_delay_alu instid0(VALU_DEP_3) | instskip(NEXT) | instid1(VALU_DEP_2)
	v_mul_hi_i32 v7, 0x2aaaaaab, v6
	v_dual_add_nc_u32 v5, v3, v5 :: v_dual_add_nc_u32 v8, v4, v2
	s_delay_alu instid0(VALU_DEP_1) | instskip(NEXT) | instid1(VALU_DEP_3)
	v_mul_hi_i32 v2, 0x2aaaaaab, v5
	v_lshrrev_b32_e32 v4, 31, v7
	s_delay_alu instid0(VALU_DEP_3) | instskip(NEXT) | instid1(VALU_DEP_2)
	v_mul_hi_i32 v3, 0x2aaaaaab, v8
	v_dual_add_nc_u32 v4, v7, v4 :: v_dual_lshrrev_b32 v7, 31, v2
	s_delay_alu instid0(VALU_DEP_1) | instskip(NEXT) | instid1(VALU_DEP_1)
	v_mul_lo_u32 v4, v4, 6
	v_dual_lshrrev_b32 v9, 31, v3 :: v_dual_sub_nc_u32 v10, v6, v4
	s_delay_alu instid0(VALU_DEP_1) | instskip(SKIP_2) | instid1(VALU_DEP_3)
	v_dual_add_nc_u32 v2, v2, v7 :: v_dual_add_nc_u32 v3, v3, v9
	v_mad_u32 v6, v6, -10, v0
	v_add_nc_u32_e32 v0, 1, v0
	v_mul_lo_u32 v9, v2, 6
	s_delay_alu instid0(VALU_DEP_4) | instskip(SKIP_4) | instid1(VALU_DEP_3)
	v_mul_lo_u32 v7, v3, 6
	s_wait_kmcnt 0x0
	v_mad_nc_i64_i32 v[2:3], 0x90, v10, s[2:3]
	v_cmp_ge_i32_e32 vcc_lo, v0, v1
	s_or_b32 s8, vcc_lo, s8
	v_dual_sub_nc_u32 v4, v5, v9 :: v_dual_sub_nc_u32 v7, v8, v7
	s_delay_alu instid0(VALU_DEP_1) | instskip(NEXT) | instid1(VALU_DEP_2)
	v_ashrrev_i32_e32 v5, 31, v4
	v_mad_nc_i64_i32 v[2:3], v7, 24, v[2:3]
	s_delay_alu instid0(VALU_DEP_2) | instskip(NEXT) | instid1(VALU_DEP_1)
	v_lshlrev_b64_e32 v[4:5], 2, v[4:5]
	v_add_nc_u64_e32 v[2:3], v[2:3], v[4:5]
	global_load_b32 v8, v6, s[6:7] scale_offset
	global_load_b32 v9, v[2:3], off
	s_wait_xcnt 0x0
	v_mad_nc_i64_i32 v[2:3], 0x360, v6, s[4:5]
	s_delay_alu instid0(VALU_DEP_1) | instskip(NEXT) | instid1(VALU_DEP_1)
	v_mad_nc_i64_i32 v[2:3], 0x90, v10, v[2:3]
	v_mad_nc_i64_i32 v[2:3], v7, 24, v[2:3]
	s_delay_alu instid0(VALU_DEP_1)
	v_add_nc_u64_e32 v[2:3], v[2:3], v[4:5]
	s_wait_loadcnt 0x0
	v_mul_f32_e32 v4, v8, v9
	global_store_b32 v[2:3], v4, off
	s_wait_xcnt 0x0
	s_and_not1_b32 exec_lo, exec_lo, s8
	s_cbranch_execnz .LBB9_2
.LBB9_3:
	s_endpgm
	.section	.rodata,"a",@progbits
	.p2align	6, 0x0
	.amdhsa_kernel _Z11bp_weight_fPA6_A6_A6_fPfPS0_
		.amdhsa_group_segment_fixed_size 0
		.amdhsa_private_segment_fixed_size 0
		.amdhsa_kernarg_size 280
		.amdhsa_user_sgpr_count 2
		.amdhsa_user_sgpr_dispatch_ptr 0
		.amdhsa_user_sgpr_queue_ptr 0
		.amdhsa_user_sgpr_kernarg_segment_ptr 1
		.amdhsa_user_sgpr_dispatch_id 0
		.amdhsa_user_sgpr_kernarg_preload_length 0
		.amdhsa_user_sgpr_kernarg_preload_offset 0
		.amdhsa_user_sgpr_private_segment_size 0
		.amdhsa_wavefront_size32 1
		.amdhsa_uses_dynamic_stack 0
		.amdhsa_enable_private_segment 0
		.amdhsa_system_sgpr_workgroup_id_x 1
		.amdhsa_system_sgpr_workgroup_id_y 0
		.amdhsa_system_sgpr_workgroup_id_z 0
		.amdhsa_system_sgpr_workgroup_info 0
		.amdhsa_system_vgpr_workitem_id 0
		.amdhsa_next_free_vgpr 11
		.amdhsa_next_free_sgpr 9
		.amdhsa_named_barrier_count 0
		.amdhsa_reserve_vcc 1
		.amdhsa_float_round_mode_32 0
		.amdhsa_float_round_mode_16_64 0
		.amdhsa_float_denorm_mode_32 3
		.amdhsa_float_denorm_mode_16_64 3
		.amdhsa_fp16_overflow 0
		.amdhsa_memory_ordered 1
		.amdhsa_forward_progress 1
		.amdhsa_inst_pref_size 7
		.amdhsa_round_robin_scheduling 0
		.amdhsa_exception_fp_ieee_invalid_op 0
		.amdhsa_exception_fp_denorm_src 0
		.amdhsa_exception_fp_ieee_div_zero 0
		.amdhsa_exception_fp_ieee_overflow 0
		.amdhsa_exception_fp_ieee_underflow 0
		.amdhsa_exception_fp_ieee_inexact 0
		.amdhsa_exception_int_div_zero 0
	.end_amdhsa_kernel
	.text
.Lfunc_end9:
	.size	_Z11bp_weight_fPA6_A6_A6_fPfPS0_, .Lfunc_end9-_Z11bp_weight_fPA6_A6_A6_fPfPS0_
                                        ; -- End function
	.set _Z11bp_weight_fPA6_A6_A6_fPfPS0_.num_vgpr, 11
	.set _Z11bp_weight_fPA6_A6_A6_fPfPS0_.num_agpr, 0
	.set _Z11bp_weight_fPA6_A6_A6_fPfPS0_.numbered_sgpr, 9
	.set _Z11bp_weight_fPA6_A6_A6_fPfPS0_.num_named_barrier, 0
	.set _Z11bp_weight_fPA6_A6_A6_fPfPS0_.private_seg_size, 0
	.set _Z11bp_weight_fPA6_A6_A6_fPfPS0_.uses_vcc, 1
	.set _Z11bp_weight_fPA6_A6_A6_fPfPS0_.uses_flat_scratch, 0
	.set _Z11bp_weight_fPA6_A6_A6_fPfPS0_.has_dyn_sized_stack, 0
	.set _Z11bp_weight_fPA6_A6_A6_fPfPS0_.has_recursion, 0
	.set _Z11bp_weight_fPA6_A6_A6_fPfPS0_.has_indirect_call, 0
	.section	.AMDGPU.csdata,"",@progbits
; Kernel info:
; codeLenInByte = 856
; TotalNumSgprs: 11
; NumVgprs: 11
; ScratchSize: 0
; MemoryBound: 0
; FloatMode: 240
; IeeeMode: 1
; LDSByteSize: 0 bytes/workgroup (compile time only)
; SGPRBlocks: 0
; VGPRBlocks: 0
; NumSGPRsForWavesPerEU: 11
; NumVGPRsForWavesPerEU: 11
; NamedBarCnt: 0
; Occupancy: 16
; WaveLimiterHint : 0
; COMPUTE_PGM_RSRC2:SCRATCH_EN: 0
; COMPUTE_PGM_RSRC2:USER_SGPR: 2
; COMPUTE_PGM_RSRC2:TRAP_HANDLER: 0
; COMPUTE_PGM_RSRC2:TGID_X_EN: 1
; COMPUTE_PGM_RSRC2:TGID_Y_EN: 0
; COMPUTE_PGM_RSRC2:TGID_Z_EN: 0
; COMPUTE_PGM_RSRC2:TIDIG_COMP_CNT: 0
	.text
	.protected	_Z9bp_bias_fPfS_        ; -- Begin function _Z9bp_bias_fPfS_
	.globl	_Z9bp_bias_fPfS_
	.p2align	8
	.type	_Z9bp_bias_fPfS_,@function
_Z9bp_bias_fPfS_:                       ; @_Z9bp_bias_fPfS_
; %bb.0:
	s_clause 0x1
	s_load_b32 s2, s[0:1], 0x1c
	s_load_b32 s3, s[0:1], 0x10
	s_bfe_u32 s4, ttmp6, 0x4000c
	s_and_b32 s5, ttmp6, 15
	s_add_co_i32 s4, s4, 1
	s_getreg_b32 s6, hwreg(HW_REG_IB_STS2, 6, 4)
	s_mul_i32 s4, ttmp9, s4
	s_delay_alu instid0(SALU_CYCLE_1)
	s_add_co_i32 s5, s5, s4
	s_wait_kmcnt 0x0
	s_and_b32 s2, s2, 0xffff
	s_cmp_eq_u32 s6, 0
	s_mul_i32 s3, s3, s2
	s_cselect_b32 s4, ttmp9, s5
	s_abs_i32 s5, s3
	v_mad_u32 v0, s4, s2, v0
	s_cvt_f32_u32 s2, s5
	s_sub_co_i32 s4, 0, s5
	s_ashr_i32 s3, s3, 31
	s_delay_alu instid0(SALU_CYCLE_1) | instskip(NEXT) | instid1(VALU_DEP_1)
	v_rcp_iflag_f32_e32 v1, s2
	v_mul_lo_u32 v0, v0, 10
	s_delay_alu instid0(TRANS32_DEP_1) | instskip(SKIP_1) | instid1(SALU_CYCLE_3)
	v_readfirstlane_b32 s2, v1
	s_mul_f32 s2, s2, 0x4f7ffffe
	s_cvt_u32_f32 s2, s2
	v_dual_sub_nc_u32 v1, 0, v0 :: v_dual_add_nc_u32 v2, 10, v0
	v_sub_nc_u32_e32 v3, -10, v0
	s_delay_alu instid0(SALU_CYCLE_1) | instskip(NEXT) | instid1(VALU_DEP_2)
	s_mul_i32 s4, s4, s2
	v_max_i32_e32 v1, v0, v1
	s_mul_hi_u32 s4, s2, s4
	s_delay_alu instid0(VALU_DEP_2) | instskip(SKIP_3) | instid1(VALU_DEP_3)
	v_dual_ashrrev_i32 v0, 31, v0 :: v_dual_max_i32 v3, v2, v3
	s_add_co_i32 s2, s2, s4
	v_ashrrev_i32_e32 v2, 31, v2
	v_mul_hi_u32 v4, v1, s2
	v_mul_hi_u32 v5, v3, s2
	s_delay_alu instid0(VALU_DEP_2) | instskip(NEXT) | instid1(VALU_DEP_2)
	v_mul_lo_u32 v6, v4, s5
	v_mul_lo_u32 v7, v5, s5
	s_delay_alu instid0(VALU_DEP_2) | instskip(NEXT) | instid1(VALU_DEP_2)
	v_dual_sub_nc_u32 v1, v1, v6 :: v_dual_bitop2_b32 v0, s3, v0 bitop3:0x14
	v_dual_add_nc_u32 v6, 1, v4 :: v_dual_sub_nc_u32 v3, v3, v7
	s_delay_alu instid0(VALU_DEP_2) | instskip(SKIP_1) | instid1(VALU_DEP_3)
	v_cmp_le_u32_e32 vcc_lo, s5, v1
	v_add_nc_u32_e32 v7, 1, v5
	v_subrev_nc_u32_e32 v8, s5, v3
	v_cmp_le_u32_e64 s2, s5, v3
	v_cndmask_b32_e32 v4, v4, v6, vcc_lo
	v_subrev_nc_u32_e32 v6, s5, v1
	s_delay_alu instid0(VALU_DEP_3) | instskip(SKIP_1) | instid1(VALU_DEP_2)
	v_dual_cndmask_b32 v5, v5, v7, s2 :: v_dual_cndmask_b32 v3, v3, v8, s2
	s_mov_b32 s2, 0
	v_dual_cndmask_b32 v1, v1, v6 :: v_dual_add_nc_u32 v6, 1, v4
	s_delay_alu instid0(VALU_DEP_2) | instskip(NEXT) | instid1(VALU_DEP_2)
	v_add_nc_u32_e32 v7, 1, v5
	v_cmp_le_u32_e32 vcc_lo, s5, v1
	s_delay_alu instid0(VALU_DEP_3) | instskip(SKIP_4) | instid1(VALU_DEP_1)
	v_cndmask_b32_e32 v1, v4, v6, vcc_lo
	v_cmp_le_u32_e32 vcc_lo, s5, v3
	v_xor_b32_e32 v2, s3, v2
	s_mov_b32 s3, exec_lo
	v_cndmask_b32_e32 v3, v5, v7, vcc_lo
	v_xor_b32_e32 v3, v3, v2
	s_delay_alu instid0(VALU_DEP_1) | instskip(NEXT) | instid1(VALU_DEP_1)
	v_dual_sub_nc_u32 v6, v3, v2 :: v_dual_bitop2_b32 v1, v1, v0 bitop3:0x14
	v_sub_nc_u32_e32 v0, v1, v0
	s_delay_alu instid0(VALU_DEP_1)
	v_cmpx_lt_i32_e64 v0, v6
	s_cbranch_execz .LBB10_3
; %bb.1:
	s_load_b128 s[4:7], s[0:1], 0x0
	v_ashrrev_i32_e32 v1, 31, v0
	s_delay_alu instid0(VALU_DEP_1) | instskip(SKIP_1) | instid1(VALU_DEP_1)
	v_lshlrev_b64_e32 v[4:5], 2, v[0:1]
	s_wait_kmcnt 0x0
	v_add_nc_u64_e32 v[2:3], s[6:7], v[4:5]
	v_add_nc_u64_e32 v[4:5], s[4:5], v[4:5]
.LBB10_2:                               ; =>This Inner Loop Header: Depth=1
	global_load_b32 v1, v[2:3], off
	global_load_b32 v7, v[4:5], off
	v_add_nc_u32_e32 v0, 1, v0
	s_wait_xcnt 0x1
	v_add_nc_u64_e32 v[2:3], 4, v[2:3]
	s_wait_loadcnt 0x0
	v_fmac_f32_e32 v7, 0x3dcccccd, v1
	v_cmp_ge_i32_e32 vcc_lo, v0, v6
	global_store_b32 v[4:5], v7, off
	s_wait_xcnt 0x0
	v_add_nc_u64_e32 v[4:5], 4, v[4:5]
	s_or_b32 s2, vcc_lo, s2
	s_delay_alu instid0(SALU_CYCLE_1)
	s_and_not1_b32 exec_lo, exec_lo, s2
	s_cbranch_execnz .LBB10_2
.LBB10_3:
	s_endpgm
	.section	.rodata,"a",@progbits
	.p2align	6, 0x0
	.amdhsa_kernel _Z9bp_bias_fPfS_
		.amdhsa_group_segment_fixed_size 0
		.amdhsa_private_segment_fixed_size 0
		.amdhsa_kernarg_size 272
		.amdhsa_user_sgpr_count 2
		.amdhsa_user_sgpr_dispatch_ptr 0
		.amdhsa_user_sgpr_queue_ptr 0
		.amdhsa_user_sgpr_kernarg_segment_ptr 1
		.amdhsa_user_sgpr_dispatch_id 0
		.amdhsa_user_sgpr_kernarg_preload_length 0
		.amdhsa_user_sgpr_kernarg_preload_offset 0
		.amdhsa_user_sgpr_private_segment_size 0
		.amdhsa_wavefront_size32 1
		.amdhsa_uses_dynamic_stack 0
		.amdhsa_enable_private_segment 0
		.amdhsa_system_sgpr_workgroup_id_x 1
		.amdhsa_system_sgpr_workgroup_id_y 0
		.amdhsa_system_sgpr_workgroup_id_z 0
		.amdhsa_system_sgpr_workgroup_info 0
		.amdhsa_system_vgpr_workitem_id 0
		.amdhsa_next_free_vgpr 9
		.amdhsa_next_free_sgpr 8
		.amdhsa_named_barrier_count 0
		.amdhsa_reserve_vcc 1
		.amdhsa_float_round_mode_32 0
		.amdhsa_float_round_mode_16_64 0
		.amdhsa_float_denorm_mode_32 3
		.amdhsa_float_denorm_mode_16_64 3
		.amdhsa_fp16_overflow 0
		.amdhsa_memory_ordered 1
		.amdhsa_forward_progress 1
		.amdhsa_inst_pref_size 5
		.amdhsa_round_robin_scheduling 0
		.amdhsa_exception_fp_ieee_invalid_op 0
		.amdhsa_exception_fp_denorm_src 0
		.amdhsa_exception_fp_ieee_div_zero 0
		.amdhsa_exception_fp_ieee_overflow 0
		.amdhsa_exception_fp_ieee_underflow 0
		.amdhsa_exception_fp_ieee_inexact 0
		.amdhsa_exception_int_div_zero 0
	.end_amdhsa_kernel
	.text
.Lfunc_end10:
	.size	_Z9bp_bias_fPfS_, .Lfunc_end10-_Z9bp_bias_fPfS_
                                        ; -- End function
	.set _Z9bp_bias_fPfS_.num_vgpr, 9
	.set _Z9bp_bias_fPfS_.num_agpr, 0
	.set _Z9bp_bias_fPfS_.numbered_sgpr, 8
	.set _Z9bp_bias_fPfS_.num_named_barrier, 0
	.set _Z9bp_bias_fPfS_.private_seg_size, 0
	.set _Z9bp_bias_fPfS_.uses_vcc, 1
	.set _Z9bp_bias_fPfS_.uses_flat_scratch, 0
	.set _Z9bp_bias_fPfS_.has_dyn_sized_stack, 0
	.set _Z9bp_bias_fPfS_.has_recursion, 0
	.set _Z9bp_bias_fPfS_.has_indirect_call, 0
	.section	.AMDGPU.csdata,"",@progbits
; Kernel info:
; codeLenInByte = 516
; TotalNumSgprs: 10
; NumVgprs: 9
; ScratchSize: 0
; MemoryBound: 0
; FloatMode: 240
; IeeeMode: 1
; LDSByteSize: 0 bytes/workgroup (compile time only)
; SGPRBlocks: 0
; VGPRBlocks: 0
; NumSGPRsForWavesPerEU: 10
; NumVGPRsForWavesPerEU: 9
; NamedBarCnt: 0
; Occupancy: 16
; WaveLimiterHint : 0
; COMPUTE_PGM_RSRC2:SCRATCH_EN: 0
; COMPUTE_PGM_RSRC2:USER_SGPR: 2
; COMPUTE_PGM_RSRC2:TRAP_HANDLER: 0
; COMPUTE_PGM_RSRC2:TGID_X_EN: 1
; COMPUTE_PGM_RSRC2:TGID_Y_EN: 0
; COMPUTE_PGM_RSRC2:TGID_Z_EN: 0
; COMPUTE_PGM_RSRC2:TIDIG_COMP_CNT: 0
	.text
	.protected	_Z12bp_output_s1PA6_A6_fPA6_S0_Pf ; -- Begin function _Z12bp_output_s1PA6_A6_fPA6_S0_Pf
	.globl	_Z12bp_output_s1PA6_A6_fPA6_S0_Pf
	.p2align	8
	.type	_Z12bp_output_s1PA6_A6_fPA6_S0_Pf,@function
_Z12bp_output_s1PA6_A6_fPA6_S0_Pf:      ; @_Z12bp_output_s1PA6_A6_fPA6_S0_Pf
; %bb.0:
	s_clause 0x1
	s_load_b32 s2, s[0:1], 0x24
	s_load_b32 s3, s[0:1], 0x18
	s_bfe_u32 s4, ttmp6, 0x4000c
	s_and_b32 s5, ttmp6, 15
	s_add_co_i32 s4, s4, 1
	s_getreg_b32 s6, hwreg(HW_REG_IB_STS2, 6, 4)
	s_mul_i32 s4, ttmp9, s4
	s_mov_b32 s8, 0
	s_add_co_i32 s5, s5, s4
	s_wait_kmcnt 0x0
	s_and_b32 s2, s2, 0xffff
	s_cmp_eq_u32 s6, 0
	s_mul_i32 s3, s3, s2
	s_cselect_b32 s4, ttmp9, s5
	s_abs_i32 s5, s3
	v_mad_u32 v0, s4, s2, v0
	s_cvt_f32_u32 s2, s5
	s_sub_co_i32 s4, 0, s5
	s_ashr_i32 s3, s3, 31
	s_delay_alu instid0(SALU_CYCLE_1) | instskip(NEXT) | instid1(VALU_DEP_1)
	v_rcp_iflag_f32_e32 v1, s2
	v_mul_lo_u32 v0, 0x870, v0
	s_delay_alu instid0(TRANS32_DEP_1) | instskip(SKIP_1) | instid1(SALU_CYCLE_3)
	v_readfirstlane_b32 s2, v1
	s_mul_f32 s2, s2, 0x4f7ffffe
	s_cvt_u32_f32 s2, s2
	v_add_nc_u32_e32 v2, 0x870, v0
	v_sub_nc_u32_e32 v3, 0xfffff790, v0
	v_sub_nc_u32_e32 v1, 0, v0
	s_mul_i32 s4, s4, s2
	s_delay_alu instid0(SALU_CYCLE_1) | instskip(NEXT) | instid1(VALU_DEP_2)
	s_mul_hi_u32 s4, s2, s4
	v_max_i32_e32 v3, v2, v3
	s_delay_alu instid0(VALU_DEP_2)
	v_dual_ashrrev_i32 v0, 31, v0 :: v_dual_max_i32 v1, v0, v1
	s_add_co_i32 s2, s2, s4
	s_delay_alu instid0(VALU_DEP_2) | instid1(SALU_CYCLE_1)
	v_mul_hi_u32 v5, v3, s2
	s_delay_alu instid0(VALU_DEP_2) | instskip(NEXT) | instid1(VALU_DEP_2)
	v_mul_hi_u32 v4, v1, s2
	v_mul_lo_u32 v7, v5, s5
	s_delay_alu instid0(VALU_DEP_2) | instskip(NEXT) | instid1(VALU_DEP_2)
	v_mul_lo_u32 v6, v4, s5
	v_dual_sub_nc_u32 v3, v3, v7 :: v_dual_bitop2_b32 v0, s3, v0 bitop3:0x14
	s_delay_alu instid0(VALU_DEP_2) | instskip(NEXT) | instid1(VALU_DEP_2)
	v_dual_sub_nc_u32 v1, v1, v6 :: v_dual_add_nc_u32 v6, 1, v4
	v_subrev_nc_u32_e32 v8, s5, v3
	s_delay_alu instid0(VALU_DEP_2) | instskip(SKIP_1) | instid1(VALU_DEP_4)
	v_cmp_le_u32_e32 vcc_lo, s5, v1
	v_cmp_le_u32_e64 s2, s5, v3
	v_cndmask_b32_e32 v4, v4, v6, vcc_lo
	v_subrev_nc_u32_e32 v6, s5, v1
	s_delay_alu instid0(VALU_DEP_1) | instskip(NEXT) | instid1(VALU_DEP_3)
	v_dual_cndmask_b32 v1, v1, v6, vcc_lo :: v_dual_add_nc_u32 v7, 1, v5
	v_dual_ashrrev_i32 v2, 31, v2 :: v_dual_add_nc_u32 v6, 1, v4
	s_delay_alu instid0(VALU_DEP_2) | instskip(NEXT) | instid1(VALU_DEP_3)
	v_cmp_le_u32_e32 vcc_lo, s5, v1
	v_dual_cndmask_b32 v5, v5, v7, s2 :: v_dual_cndmask_b32 v3, v3, v8, s2
	s_mov_b32 s2, exec_lo
	s_delay_alu instid0(VALU_DEP_1) | instskip(NEXT) | instid1(VALU_DEP_2)
	v_dual_cndmask_b32 v1, v4, v6, vcc_lo :: v_dual_add_nc_u32 v7, 1, v5
	v_cmp_le_u32_e32 vcc_lo, s5, v3
	v_xor_b32_e32 v2, s3, v2
	s_delay_alu instid0(VALU_DEP_3) | instskip(NEXT) | instid1(VALU_DEP_4)
	v_xor_b32_e32 v1, v1, v0
	v_cndmask_b32_e32 v3, v5, v7, vcc_lo
	s_delay_alu instid0(VALU_DEP_1) | instskip(NEXT) | instid1(VALU_DEP_1)
	v_dual_sub_nc_u32 v0, v1, v0 :: v_dual_bitop2_b32 v3, v3, v2 bitop3:0x14
	v_sub_nc_u32_e32 v1, v3, v2
	s_delay_alu instid0(VALU_DEP_1)
	v_cmpx_lt_i32_e64 v0, v1
	s_cbranch_execz .LBB11_3
; %bb.1:
	s_clause 0x1
	s_load_b128 s[4:7], s[0:1], 0x0
	s_load_b64 s[2:3], s[0:1], 0x10
.LBB11_2:                               ; =>This Inner Loop Header: Depth=1
	v_mul_hi_i32 v2, 0x66666667, v0
	v_mul_hi_i32 v3, 0xb60b60b7, v0
	;; [unrolled: 1-line block ×3, first 2 shown]
	s_delay_alu instid0(VALU_DEP_3) | instskip(NEXT) | instid1(VALU_DEP_2)
	v_dual_lshrrev_b32 v5, 31, v2 :: v_dual_ashrrev_i32 v2, 2, v2
	v_dual_add_nc_u32 v4, v4, v0 :: v_dual_add_nc_u32 v3, v3, v0
	s_delay_alu instid0(VALU_DEP_1) | instskip(NEXT) | instid1(VALU_DEP_2)
	v_dual_add_nc_u32 v5, v2, v5 :: v_dual_lshrrev_b32 v2, 31, v4
	v_dual_lshrrev_b32 v6, 31, v3 :: v_dual_ashrrev_i32 v3, 8, v3
	v_ashrrev_i32_e32 v4, 5, v4
	s_delay_alu instid0(VALU_DEP_3) | instskip(SKIP_1) | instid1(VALU_DEP_4)
	v_mul_hi_i32 v7, 0x2aaaaaab, v5
	v_mad_u32 v10, v5, -10, v0
	v_dual_add_nc_u32 v0, 1, v0 :: v_dual_add_nc_u32 v6, v3, v6
	s_delay_alu instid0(VALU_DEP_4) | instskip(NEXT) | instid1(VALU_DEP_2)
	v_add_nc_u32_e32 v8, v4, v2
	v_cmp_ge_i32_e32 vcc_lo, v0, v1
	s_delay_alu instid0(VALU_DEP_3) | instskip(SKIP_1) | instid1(VALU_DEP_4)
	v_mul_hi_i32 v4, 0x2aaaaaab, v6
	v_lshrrev_b32_e32 v2, 31, v7
	v_mul_hi_i32 v9, 0x2aaaaaab, v8
	s_or_b32 s8, vcc_lo, s8
	s_delay_alu instid0(VALU_DEP_2) | instskip(NEXT) | instid1(VALU_DEP_1)
	v_dual_add_nc_u32 v2, v7, v2 :: v_dual_lshrrev_b32 v7, 31, v4
	v_mul_lo_u32 v11, v2, 6
	s_wait_kmcnt 0x0
	v_mad_nc_i64_i32 v[2:3], 0x360, v10, s[6:7]
	s_delay_alu instid0(VALU_DEP_3) | instskip(NEXT) | instid1(VALU_DEP_1)
	v_dual_lshrrev_b32 v12, 31, v9 :: v_dual_add_nc_u32 v4, v4, v7
	v_add_nc_u32_e32 v7, v9, v12
	s_delay_alu instid0(VALU_DEP_2) | instskip(SKIP_1) | instid1(VALU_DEP_3)
	v_mul_lo_u32 v4, v4, 6
	v_sub_nc_u32_e32 v9, v5, v11
	v_mul_lo_u32 v7, v7, 6
	s_delay_alu instid0(VALU_DEP_3) | instskip(NEXT) | instid1(VALU_DEP_3)
	v_sub_nc_u32_e32 v4, v6, v4
	v_mad_nc_i64_i32 v[2:3], 0x90, v9, v[2:3]
	s_delay_alu instid0(VALU_DEP_2) | instskip(NEXT) | instid1(VALU_DEP_1)
	v_dual_sub_nc_u32 v6, v8, v7 :: v_dual_ashrrev_i32 v5, 31, v4
	v_lshlrev_b64_e32 v[4:5], 2, v[4:5]
	s_delay_alu instid0(VALU_DEP_2) | instskip(NEXT) | instid1(VALU_DEP_1)
	v_mad_nc_i64_i32 v[2:3], v6, 24, v[2:3]
	v_add_nc_u64_e32 v[2:3], v[2:3], v[4:5]
	global_load_b32 v7, v10, s[2:3] scale_offset
	global_load_b32 v8, v[2:3], off
	s_wait_xcnt 0x0
	v_mad_nc_i64_i32 v[2:3], 0x90, v9, s[4:5]
	s_delay_alu instid0(VALU_DEP_1) | instskip(NEXT) | instid1(VALU_DEP_1)
	v_mad_nc_i64_i32 v[2:3], v6, 24, v[2:3]
	v_add_nc_u64_e32 v[2:3], v[2:3], v[4:5]
	s_wait_loadcnt 0x0
	v_mul_f32_e32 v4, v8, v7
	global_atomic_add_f32 v[2:3], v4, off scope:SCOPE_DEV
	s_wait_xcnt 0x0
	s_and_not1_b32 exec_lo, exec_lo, s8
	s_cbranch_execnz .LBB11_2
.LBB11_3:
	s_endpgm
	.section	.rodata,"a",@progbits
	.p2align	6, 0x0
	.amdhsa_kernel _Z12bp_output_s1PA6_A6_fPA6_S0_Pf
		.amdhsa_group_segment_fixed_size 0
		.amdhsa_private_segment_fixed_size 0
		.amdhsa_kernarg_size 280
		.amdhsa_user_sgpr_count 2
		.amdhsa_user_sgpr_dispatch_ptr 0
		.amdhsa_user_sgpr_queue_ptr 0
		.amdhsa_user_sgpr_kernarg_segment_ptr 1
		.amdhsa_user_sgpr_dispatch_id 0
		.amdhsa_user_sgpr_kernarg_preload_length 0
		.amdhsa_user_sgpr_kernarg_preload_offset 0
		.amdhsa_user_sgpr_private_segment_size 0
		.amdhsa_wavefront_size32 1
		.amdhsa_uses_dynamic_stack 0
		.amdhsa_enable_private_segment 0
		.amdhsa_system_sgpr_workgroup_id_x 1
		.amdhsa_system_sgpr_workgroup_id_y 0
		.amdhsa_system_sgpr_workgroup_id_z 0
		.amdhsa_system_sgpr_workgroup_info 0
		.amdhsa_system_vgpr_workitem_id 0
		.amdhsa_next_free_vgpr 13
		.amdhsa_next_free_sgpr 9
		.amdhsa_named_barrier_count 0
		.amdhsa_reserve_vcc 1
		.amdhsa_float_round_mode_32 0
		.amdhsa_float_round_mode_16_64 0
		.amdhsa_float_denorm_mode_32 3
		.amdhsa_float_denorm_mode_16_64 3
		.amdhsa_fp16_overflow 0
		.amdhsa_memory_ordered 1
		.amdhsa_forward_progress 1
		.amdhsa_inst_pref_size 7
		.amdhsa_round_robin_scheduling 0
		.amdhsa_exception_fp_ieee_invalid_op 0
		.amdhsa_exception_fp_denorm_src 0
		.amdhsa_exception_fp_ieee_div_zero 0
		.amdhsa_exception_fp_ieee_overflow 0
		.amdhsa_exception_fp_ieee_underflow 0
		.amdhsa_exception_fp_ieee_inexact 0
		.amdhsa_exception_int_div_zero 0
	.end_amdhsa_kernel
	.text
.Lfunc_end11:
	.size	_Z12bp_output_s1PA6_A6_fPA6_S0_Pf, .Lfunc_end11-_Z12bp_output_s1PA6_A6_fPA6_S0_Pf
                                        ; -- End function
	.set _Z12bp_output_s1PA6_A6_fPA6_S0_Pf.num_vgpr, 13
	.set _Z12bp_output_s1PA6_A6_fPA6_S0_Pf.num_agpr, 0
	.set _Z12bp_output_s1PA6_A6_fPA6_S0_Pf.numbered_sgpr, 9
	.set _Z12bp_output_s1PA6_A6_fPA6_S0_Pf.num_named_barrier, 0
	.set _Z12bp_output_s1PA6_A6_fPA6_S0_Pf.private_seg_size, 0
	.set _Z12bp_output_s1PA6_A6_fPA6_S0_Pf.uses_vcc, 1
	.set _Z12bp_output_s1PA6_A6_fPA6_S0_Pf.uses_flat_scratch, 0
	.set _Z12bp_output_s1PA6_A6_fPA6_S0_Pf.has_dyn_sized_stack, 0
	.set _Z12bp_output_s1PA6_A6_fPA6_S0_Pf.has_recursion, 0
	.set _Z12bp_output_s1PA6_A6_fPA6_S0_Pf.has_indirect_call, 0
	.section	.AMDGPU.csdata,"",@progbits
; Kernel info:
; codeLenInByte = 852
; TotalNumSgprs: 11
; NumVgprs: 13
; ScratchSize: 0
; MemoryBound: 0
; FloatMode: 240
; IeeeMode: 1
; LDSByteSize: 0 bytes/workgroup (compile time only)
; SGPRBlocks: 0
; VGPRBlocks: 0
; NumSGPRsForWavesPerEU: 11
; NumVGPRsForWavesPerEU: 13
; NamedBarCnt: 0
; Occupancy: 16
; WaveLimiterHint : 0
; COMPUTE_PGM_RSRC2:SCRATCH_EN: 0
; COMPUTE_PGM_RSRC2:USER_SGPR: 2
; COMPUTE_PGM_RSRC2:TRAP_HANDLER: 0
; COMPUTE_PGM_RSRC2:TGID_X_EN: 1
; COMPUTE_PGM_RSRC2:TGID_Y_EN: 0
; COMPUTE_PGM_RSRC2:TGID_Z_EN: 0
; COMPUTE_PGM_RSRC2:TIDIG_COMP_CNT: 0
	.text
	.protected	_Z12bp_preact_s1PA6_A6_fS1_S1_ ; -- Begin function _Z12bp_preact_s1PA6_A6_fS1_S1_
	.globl	_Z12bp_preact_s1PA6_A6_fS1_S1_
	.p2align	8
	.type	_Z12bp_preact_s1PA6_A6_fS1_S1_,@function
_Z12bp_preact_s1PA6_A6_fS1_S1_:         ; @_Z12bp_preact_s1PA6_A6_fS1_S1_
; %bb.0:
	s_clause 0x1
	s_load_b32 s2, s[0:1], 0x24
	s_load_b32 s3, s[0:1], 0x18
	s_bfe_u32 s4, ttmp6, 0x4000c
	s_and_b32 s5, ttmp6, 15
	s_add_co_i32 s4, s4, 1
	s_getreg_b32 s6, hwreg(HW_REG_IB_STS2, 6, 4)
	s_mul_i32 s4, ttmp9, s4
	s_mov_b32 s8, 0
	s_add_co_i32 s5, s5, s4
	s_wait_kmcnt 0x0
	s_and_b32 s2, s2, 0xffff
	s_cmp_eq_u32 s6, 0
	s_mul_i32 s3, s3, s2
	s_cselect_b32 s4, ttmp9, s5
	s_abs_i32 s5, s3
	v_mad_u32 v0, s4, s2, v0
	s_cvt_f32_u32 s2, s5
	s_sub_co_i32 s4, 0, s5
	s_ashr_i32 s3, s3, 31
	s_delay_alu instid0(SALU_CYCLE_1) | instskip(NEXT) | instid1(VALU_DEP_1)
	v_rcp_iflag_f32_e32 v1, s2
	v_mul_lo_u32 v0, 0xd8, v0
	s_delay_alu instid0(TRANS32_DEP_1) | instskip(SKIP_1) | instid1(SALU_CYCLE_3)
	v_readfirstlane_b32 s2, v1
	s_mul_f32 s2, s2, 0x4f7ffffe
	s_cvt_u32_f32 s2, s2
	v_add_nc_u32_e32 v2, 0xd8, v0
	v_sub_nc_u32_e32 v3, 0xffffff28, v0
	v_sub_nc_u32_e32 v1, 0, v0
	s_mul_i32 s4, s4, s2
	s_delay_alu instid0(SALU_CYCLE_1) | instskip(NEXT) | instid1(VALU_DEP_2)
	s_mul_hi_u32 s4, s2, s4
	v_max_i32_e32 v3, v2, v3
	s_delay_alu instid0(VALU_DEP_2)
	v_dual_ashrrev_i32 v0, 31, v0 :: v_dual_max_i32 v1, v0, v1
	s_add_co_i32 s2, s2, s4
	s_delay_alu instid0(VALU_DEP_2) | instid1(SALU_CYCLE_1)
	v_mul_hi_u32 v5, v3, s2
	s_delay_alu instid0(VALU_DEP_2) | instskip(NEXT) | instid1(VALU_DEP_2)
	v_mul_hi_u32 v4, v1, s2
	v_mul_lo_u32 v7, v5, s5
	s_delay_alu instid0(VALU_DEP_2) | instskip(NEXT) | instid1(VALU_DEP_2)
	v_mul_lo_u32 v6, v4, s5
	v_dual_sub_nc_u32 v3, v3, v7 :: v_dual_bitop2_b32 v0, s3, v0 bitop3:0x14
	s_delay_alu instid0(VALU_DEP_2) | instskip(NEXT) | instid1(VALU_DEP_2)
	v_dual_sub_nc_u32 v1, v1, v6 :: v_dual_add_nc_u32 v6, 1, v4
	v_subrev_nc_u32_e32 v8, s5, v3
	s_delay_alu instid0(VALU_DEP_2) | instskip(SKIP_1) | instid1(VALU_DEP_4)
	v_cmp_le_u32_e32 vcc_lo, s5, v1
	v_cmp_le_u32_e64 s2, s5, v3
	v_cndmask_b32_e32 v4, v4, v6, vcc_lo
	v_subrev_nc_u32_e32 v6, s5, v1
	s_delay_alu instid0(VALU_DEP_1) | instskip(NEXT) | instid1(VALU_DEP_3)
	v_dual_cndmask_b32 v1, v1, v6, vcc_lo :: v_dual_add_nc_u32 v7, 1, v5
	v_dual_ashrrev_i32 v2, 31, v2 :: v_dual_add_nc_u32 v6, 1, v4
	s_delay_alu instid0(VALU_DEP_2) | instskip(NEXT) | instid1(VALU_DEP_3)
	v_cmp_le_u32_e32 vcc_lo, s5, v1
	v_dual_cndmask_b32 v5, v5, v7, s2 :: v_dual_cndmask_b32 v3, v3, v8, s2
	s_mov_b32 s2, exec_lo
	s_delay_alu instid0(VALU_DEP_1) | instskip(NEXT) | instid1(VALU_DEP_2)
	v_dual_cndmask_b32 v1, v4, v6, vcc_lo :: v_dual_add_nc_u32 v7, 1, v5
	v_cmp_le_u32_e32 vcc_lo, s5, v3
	v_xor_b32_e32 v2, s3, v2
	s_delay_alu instid0(VALU_DEP_3) | instskip(NEXT) | instid1(VALU_DEP_4)
	v_xor_b32_e32 v1, v1, v0
	v_cndmask_b32_e32 v3, v5, v7, vcc_lo
	s_delay_alu instid0(VALU_DEP_1) | instskip(NEXT) | instid1(VALU_DEP_1)
	v_dual_sub_nc_u32 v0, v1, v0 :: v_dual_bitop2_b32 v3, v3, v2 bitop3:0x14
	v_sub_nc_u32_e32 v1, v3, v2
	s_delay_alu instid0(VALU_DEP_1)
	v_cmpx_lt_i32_e64 v0, v1
	s_cbranch_execz .LBB12_3
; %bb.1:
	s_clause 0x1
	s_load_b128 s[4:7], s[0:1], 0x0
	s_load_b64 s[2:3], s[0:1], 0x10
.LBB12_2:                               ; =>This Inner Loop Header: Depth=1
	v_mul_hi_i32 v2, 0x2aaaaaab, v0
	s_delay_alu instid0(VALU_DEP_1) | instskip(NEXT) | instid1(VALU_DEP_1)
	v_lshrrev_b32_e32 v3, 31, v2
	v_add_nc_u32_e32 v4, v2, v3
	v_mul_hi_i32 v3, 0x38e38e39, v0
	s_delay_alu instid0(VALU_DEP_1) | instskip(NEXT) | instid1(VALU_DEP_3)
	v_lshrrev_b32_e32 v5, 31, v3
	v_mul_hi_i32 v2, 0x2aaaaaab, v4
	s_delay_alu instid0(VALU_DEP_1) | instskip(NEXT) | instid1(VALU_DEP_1)
	v_dual_lshrrev_b32 v6, 31, v2 :: v_dual_ashrrev_i32 v3, 3, v3
	v_add_nc_u32_e32 v6, v2, v6
	v_mad_u32 v2, v4, -6, v0
	s_delay_alu instid0(VALU_DEP_3) | instskip(NEXT) | instid1(VALU_DEP_3)
	v_dual_add_nc_u32 v7, v3, v5 :: v_dual_add_nc_u32 v0, 1, v0
	v_mul_lo_u32 v6, v6, 6
	s_delay_alu instid0(VALU_DEP_3) | instskip(NEXT) | instid1(VALU_DEP_3)
	v_ashrrev_i32_e32 v3, 31, v2
	v_mul_hi_i32 v8, 0x2aaaaaab, v7
	s_delay_alu instid0(VALU_DEP_3) | instskip(NEXT) | instid1(VALU_DEP_3)
	v_sub_nc_u32_e32 v4, v4, v6
	v_mul_u64_e32 v[2:3], 0x90, v[2:3]
	s_delay_alu instid0(VALU_DEP_3) | instskip(NEXT) | instid1(VALU_DEP_1)
	v_lshrrev_b32_e32 v6, 31, v8
	v_dual_ashrrev_i32 v5, 31, v4 :: v_dual_add_nc_u32 v6, v8, v6
	s_delay_alu instid0(VALU_DEP_1) | instskip(NEXT) | instid1(VALU_DEP_2)
	v_mul_u64_e32 v[4:5], 24, v[4:5]
	v_mul_lo_u32 v6, v6, 6
	s_delay_alu instid0(VALU_DEP_1) | instskip(SKIP_2) | instid1(VALU_DEP_2)
	v_sub_nc_u32_e32 v6, v7, v6
	s_wait_kmcnt 0x0
	v_add_nc_u64_e32 v[8:9], s[2:3], v[2:3]
	v_ashrrev_i32_e32 v7, 31, v6
	s_delay_alu instid0(VALU_DEP_1) | instskip(NEXT) | instid1(VALU_DEP_3)
	v_lshlrev_b64_e32 v[6:7], 2, v[6:7]
	v_add_nc_u64_e32 v[8:9], v[8:9], v[4:5]
	s_delay_alu instid0(VALU_DEP_1) | instskip(SKIP_4) | instid1(VALU_DEP_2)
	v_add_nc_u64_e32 v[8:9], v[8:9], v[6:7]
	global_load_b32 v10, v[8:9], off
	s_wait_xcnt 0x0
	v_add_nc_u64_e32 v[8:9], s[6:7], v[2:3]
	v_add_nc_u64_e32 v[2:3], s[4:5], v[2:3]
	v_add_nc_u64_e32 v[8:9], v[8:9], v[4:5]
	s_delay_alu instid0(VALU_DEP_2) | instskip(NEXT) | instid1(VALU_DEP_2)
	v_add_nc_u64_e32 v[2:3], v[2:3], v[4:5]
	v_add_nc_u64_e32 v[8:9], v[8:9], v[6:7]
	s_delay_alu instid0(VALU_DEP_2)
	v_add_nc_u64_e32 v[2:3], v[2:3], v[6:7]
	global_load_b32 v8, v[8:9], off
	s_wait_loadcnt 0x1
	s_wait_xcnt 0x0
	v_mul_f32_e32 v9, 0xbfb8aa3b, v10
	v_cmp_nlt_f32_e32 vcc_lo, 0x42ce8ed0, v10
	s_delay_alu instid0(VALU_DEP_2) | instskip(SKIP_1) | instid1(VALU_DEP_2)
	v_fma_f32 v11, 0xbfb8aa3b, v10, -v9
	v_rndne_f32_e32 v12, v9
	v_fmac_f32_e32 v11, 0xb2a5705f, v10
	s_delay_alu instid0(VALU_DEP_2) | instskip(NEXT) | instid1(VALU_DEP_1)
	v_sub_f32_e32 v9, v9, v12
	v_add_f32_e32 v9, v9, v11
	v_cvt_i32_f32_e32 v11, v12
	s_delay_alu instid0(VALU_DEP_2) | instskip(SKIP_1) | instid1(TRANS32_DEP_1)
	v_exp_f32_e32 v9, v9
	v_nop
	v_ldexp_f32 v9, v9, v11
	s_delay_alu instid0(VALU_DEP_1) | instskip(SKIP_1) | instid1(VALU_DEP_2)
	v_cndmask_b32_e32 v9, 0, v9, vcc_lo
	v_cmp_ngt_f32_e32 vcc_lo, 0xc2b17218, v10
	v_cndmask_b32_e32 v9, 0x7f800000, v9, vcc_lo
	s_delay_alu instid0(VALU_DEP_1) | instskip(NEXT) | instid1(VALU_DEP_1)
	v_add_f32_e32 v9, 1.0, v9
	v_div_scale_f32 v10, null, v9, v9, 1.0
	v_div_scale_f32 v13, vcc_lo, 1.0, v9, 1.0
	s_delay_alu instid0(VALU_DEP_2) | instskip(SKIP_1) | instid1(TRANS32_DEP_1)
	v_rcp_f32_e32 v11, v10
	v_nop
	v_fma_f32 v12, -v10, v11, 1.0
	s_delay_alu instid0(VALU_DEP_1) | instskip(NEXT) | instid1(VALU_DEP_1)
	v_fmac_f32_e32 v11, v12, v11
	v_mul_f32_e32 v12, v13, v11
	s_delay_alu instid0(VALU_DEP_1) | instskip(NEXT) | instid1(VALU_DEP_1)
	v_fma_f32 v14, -v10, v12, v13
	v_fmac_f32_e32 v12, v14, v11
	s_delay_alu instid0(VALU_DEP_1) | instskip(NEXT) | instid1(VALU_DEP_1)
	v_fma_f32 v10, -v10, v12, v13
	v_div_fmas_f32 v10, v10, v11, v12
	v_cmp_ge_i32_e32 vcc_lo, v0, v1
	s_delay_alu instid0(VALU_DEP_2) | instskip(SKIP_2) | instid1(VALU_DEP_1)
	v_div_fixup_f32 v9, v10, v9, 1.0
	s_or_b32 s8, vcc_lo, s8
	s_wait_loadcnt 0x0
	v_dual_mul_f32 v4, v8, v9 :: v_dual_sub_f32 v5, 1.0, v9
	s_delay_alu instid0(VALU_DEP_1)
	v_mul_f32_e32 v4, v4, v5
	global_store_b32 v[2:3], v4, off
	s_wait_xcnt 0x0
	s_and_not1_b32 exec_lo, exec_lo, s8
	s_cbranch_execnz .LBB12_2
.LBB12_3:
	s_endpgm
	.section	.rodata,"a",@progbits
	.p2align	6, 0x0
	.amdhsa_kernel _Z12bp_preact_s1PA6_A6_fS1_S1_
		.amdhsa_group_segment_fixed_size 0
		.amdhsa_private_segment_fixed_size 0
		.amdhsa_kernarg_size 280
		.amdhsa_user_sgpr_count 2
		.amdhsa_user_sgpr_dispatch_ptr 0
		.amdhsa_user_sgpr_queue_ptr 0
		.amdhsa_user_sgpr_kernarg_segment_ptr 1
		.amdhsa_user_sgpr_dispatch_id 0
		.amdhsa_user_sgpr_kernarg_preload_length 0
		.amdhsa_user_sgpr_kernarg_preload_offset 0
		.amdhsa_user_sgpr_private_segment_size 0
		.amdhsa_wavefront_size32 1
		.amdhsa_uses_dynamic_stack 0
		.amdhsa_enable_private_segment 0
		.amdhsa_system_sgpr_workgroup_id_x 1
		.amdhsa_system_sgpr_workgroup_id_y 0
		.amdhsa_system_sgpr_workgroup_id_z 0
		.amdhsa_system_sgpr_workgroup_info 0
		.amdhsa_system_vgpr_workitem_id 0
		.amdhsa_next_free_vgpr 15
		.amdhsa_next_free_sgpr 9
		.amdhsa_named_barrier_count 0
		.amdhsa_reserve_vcc 1
		.amdhsa_float_round_mode_32 0
		.amdhsa_float_round_mode_16_64 0
		.amdhsa_float_denorm_mode_32 3
		.amdhsa_float_denorm_mode_16_64 3
		.amdhsa_fp16_overflow 0
		.amdhsa_memory_ordered 1
		.amdhsa_forward_progress 1
		.amdhsa_inst_pref_size 8
		.amdhsa_round_robin_scheduling 0
		.amdhsa_exception_fp_ieee_invalid_op 0
		.amdhsa_exception_fp_denorm_src 0
		.amdhsa_exception_fp_ieee_div_zero 0
		.amdhsa_exception_fp_ieee_overflow 0
		.amdhsa_exception_fp_ieee_underflow 0
		.amdhsa_exception_fp_ieee_inexact 0
		.amdhsa_exception_int_div_zero 0
	.end_amdhsa_kernel
	.text
.Lfunc_end12:
	.size	_Z12bp_preact_s1PA6_A6_fS1_S1_, .Lfunc_end12-_Z12bp_preact_s1PA6_A6_fS1_S1_
                                        ; -- End function
	.set _Z12bp_preact_s1PA6_A6_fS1_S1_.num_vgpr, 15
	.set _Z12bp_preact_s1PA6_A6_fS1_S1_.num_agpr, 0
	.set _Z12bp_preact_s1PA6_A6_fS1_S1_.numbered_sgpr, 9
	.set _Z12bp_preact_s1PA6_A6_fS1_S1_.num_named_barrier, 0
	.set _Z12bp_preact_s1PA6_A6_fS1_S1_.private_seg_size, 0
	.set _Z12bp_preact_s1PA6_A6_fS1_S1_.uses_vcc, 1
	.set _Z12bp_preact_s1PA6_A6_fS1_S1_.uses_flat_scratch, 0
	.set _Z12bp_preact_s1PA6_A6_fS1_S1_.has_dyn_sized_stack, 0
	.set _Z12bp_preact_s1PA6_A6_fS1_S1_.has_recursion, 0
	.set _Z12bp_preact_s1PA6_A6_fS1_S1_.has_indirect_call, 0
	.section	.AMDGPU.csdata,"",@progbits
; Kernel info:
; codeLenInByte = 992
; TotalNumSgprs: 11
; NumVgprs: 15
; ScratchSize: 0
; MemoryBound: 0
; FloatMode: 240
; IeeeMode: 1
; LDSByteSize: 0 bytes/workgroup (compile time only)
; SGPRBlocks: 0
; VGPRBlocks: 0
; NumSGPRsForWavesPerEU: 11
; NumVGPRsForWavesPerEU: 15
; NamedBarCnt: 0
; Occupancy: 16
; WaveLimiterHint : 0
; COMPUTE_PGM_RSRC2:SCRATCH_EN: 0
; COMPUTE_PGM_RSRC2:USER_SGPR: 2
; COMPUTE_PGM_RSRC2:TRAP_HANDLER: 0
; COMPUTE_PGM_RSRC2:TGID_X_EN: 1
; COMPUTE_PGM_RSRC2:TGID_Y_EN: 0
; COMPUTE_PGM_RSRC2:TGID_Z_EN: 0
; COMPUTE_PGM_RSRC2:TIDIG_COMP_CNT: 0
	.text
	.protected	_Z12bp_weight_s1PA4_A4_fPA6_A6_fPA24_A24_f ; -- Begin function _Z12bp_weight_s1PA4_A4_fPA6_A6_fPA24_A24_f
	.globl	_Z12bp_weight_s1PA4_A4_fPA6_A6_fPA24_A24_f
	.p2align	8
	.type	_Z12bp_weight_s1PA4_A4_fPA6_A6_fPA24_A24_f,@function
_Z12bp_weight_s1PA4_A4_fPA6_A6_fPA24_A24_f: ; @_Z12bp_weight_s1PA4_A4_fPA6_A6_fPA24_A24_f
; %bb.0:
	s_clause 0x1
	s_load_b32 s2, s[0:1], 0x24
	s_load_b32 s3, s[0:1], 0x18
	s_bfe_u32 s4, ttmp6, 0x4000c
	s_and_b32 s5, ttmp6, 15
	s_add_co_i32 s4, s4, 1
	s_getreg_b32 s6, hwreg(HW_REG_IB_STS2, 6, 4)
	s_mul_i32 s4, ttmp9, s4
	s_mov_b32 s8, 0
	s_add_co_i32 s5, s5, s4
	s_wait_kmcnt 0x0
	s_and_b32 s2, s2, 0xffff
	s_cmp_eq_u32 s6, 0
	s_mul_i32 s3, s3, s2
	s_cselect_b32 s4, ttmp9, s5
	s_abs_i32 s5, s3
	v_mad_u32 v0, s4, s2, v0
	s_cvt_f32_u32 s2, s5
	s_sub_co_i32 s4, 0, s5
	s_ashr_i32 s3, s3, 31
	s_delay_alu instid0(SALU_CYCLE_1) | instskip(NEXT) | instid1(VALU_DEP_1)
	v_rcp_iflag_f32_e32 v1, s2
	v_mul_lo_u32 v0, 0xd80, v0
	s_delay_alu instid0(TRANS32_DEP_1) | instskip(SKIP_1) | instid1(SALU_CYCLE_3)
	v_readfirstlane_b32 s2, v1
	s_mul_f32 s2, s2, 0x4f7ffffe
	s_cvt_u32_f32 s2, s2
	v_add_nc_u32_e32 v2, 0xd80, v0
	v_sub_nc_u32_e32 v3, 0xfffff280, v0
	v_sub_nc_u32_e32 v1, 0, v0
	s_mul_i32 s4, s4, s2
	s_delay_alu instid0(SALU_CYCLE_1) | instskip(NEXT) | instid1(VALU_DEP_2)
	s_mul_hi_u32 s4, s2, s4
	v_max_i32_e32 v3, v2, v3
	s_delay_alu instid0(VALU_DEP_2)
	v_dual_ashrrev_i32 v0, 31, v0 :: v_dual_max_i32 v1, v0, v1
	s_add_co_i32 s2, s2, s4
	s_delay_alu instid0(VALU_DEP_2) | instid1(SALU_CYCLE_1)
	v_mul_hi_u32 v5, v3, s2
	s_delay_alu instid0(VALU_DEP_2) | instskip(NEXT) | instid1(VALU_DEP_2)
	v_mul_hi_u32 v4, v1, s2
	v_mul_lo_u32 v7, v5, s5
	s_delay_alu instid0(VALU_DEP_2) | instskip(NEXT) | instid1(VALU_DEP_2)
	v_mul_lo_u32 v6, v4, s5
	v_dual_sub_nc_u32 v3, v3, v7 :: v_dual_bitop2_b32 v0, s3, v0 bitop3:0x14
	s_delay_alu instid0(VALU_DEP_2) | instskip(NEXT) | instid1(VALU_DEP_2)
	v_dual_sub_nc_u32 v1, v1, v6 :: v_dual_add_nc_u32 v6, 1, v4
	v_subrev_nc_u32_e32 v8, s5, v3
	s_delay_alu instid0(VALU_DEP_2) | instskip(SKIP_1) | instid1(VALU_DEP_4)
	v_cmp_le_u32_e32 vcc_lo, s5, v1
	v_cmp_le_u32_e64 s2, s5, v3
	v_cndmask_b32_e32 v4, v4, v6, vcc_lo
	v_subrev_nc_u32_e32 v6, s5, v1
	s_delay_alu instid0(VALU_DEP_1) | instskip(NEXT) | instid1(VALU_DEP_3)
	v_dual_cndmask_b32 v1, v1, v6, vcc_lo :: v_dual_add_nc_u32 v7, 1, v5
	v_dual_ashrrev_i32 v2, 31, v2 :: v_dual_add_nc_u32 v6, 1, v4
	s_delay_alu instid0(VALU_DEP_2) | instskip(NEXT) | instid1(VALU_DEP_3)
	v_cmp_le_u32_e32 vcc_lo, s5, v1
	v_dual_cndmask_b32 v5, v5, v7, s2 :: v_dual_cndmask_b32 v3, v3, v8, s2
	s_mov_b32 s2, exec_lo
	s_delay_alu instid0(VALU_DEP_1) | instskip(NEXT) | instid1(VALU_DEP_2)
	v_dual_cndmask_b32 v1, v4, v6, vcc_lo :: v_dual_add_nc_u32 v7, 1, v5
	v_cmp_le_u32_e32 vcc_lo, s5, v3
	v_xor_b32_e32 v2, s3, v2
	s_delay_alu instid0(VALU_DEP_3) | instskip(NEXT) | instid1(VALU_DEP_4)
	v_xor_b32_e32 v1, v1, v0
	v_cndmask_b32_e32 v3, v5, v7, vcc_lo
	s_delay_alu instid0(VALU_DEP_1) | instskip(NEXT) | instid1(VALU_DEP_1)
	v_dual_sub_nc_u32 v0, v1, v0 :: v_dual_bitop2_b32 v3, v3, v2 bitop3:0x14
	v_sub_nc_u32_e32 v1, v3, v2
	s_delay_alu instid0(VALU_DEP_1)
	v_cmpx_lt_i32_e64 v0, v1
	s_cbranch_execz .LBB13_3
; %bb.1:
	s_clause 0x1
	s_load_b128 s[4:7], s[0:1], 0x0
	s_load_b64 s[2:3], s[0:1], 0x10
.LBB13_2:                               ; =>This Inner Loop Header: Depth=1
	v_ashrrev_i32_e32 v2, 31, v0
	v_mul_hi_i32 v3, 0x2aaaaaab, v0
	v_mul_hi_i32 v4, 0x38e38e39, v0
	s_delay_alu instid0(VALU_DEP_3) | instskip(NEXT) | instid1(VALU_DEP_1)
	v_lshrrev_b32_e32 v5, 30, v2
	v_dual_add_nc_u32 v5, v0, v5 :: v_dual_lshrrev_b32 v2, 28, v2
	s_delay_alu instid0(VALU_DEP_4) | instskip(NEXT) | instid1(VALU_DEP_4)
	v_dual_lshrrev_b32 v6, 31, v3 :: v_dual_ashrrev_i32 v3, 4, v3
	v_dual_lshrrev_b32 v7, 31, v4 :: v_dual_ashrrev_i32 v4, 7, v4
	s_delay_alu instid0(VALU_DEP_3) | instskip(NEXT) | instid1(VALU_DEP_3)
	v_dual_ashrrev_i32 v8, 2, v5 :: v_dual_add_nc_u32 v2, v0, v2
	v_dual_add_nc_u32 v3, v3, v6 :: v_dual_bitop2_b32 v12, -4, v5 bitop3:0x40
	s_delay_alu instid0(VALU_DEP_2) | instskip(NEXT) | instid1(VALU_DEP_2)
	v_dual_add_nc_u32 v7, v4, v7 :: v_dual_ashrrev_i32 v2, 4, v2
	v_mul_hi_i32 v5, 0x2aaaaaab, v3
	s_delay_alu instid0(VALU_DEP_2) | instskip(NEXT) | instid1(VALU_DEP_3)
	v_mul_hi_i32 v9, 0x2aaaaaab, v7
	v_mul_hi_i32 v6, 0x2aaaaaab, v2
	s_delay_alu instid0(VALU_DEP_1) | instskip(NEXT) | instid1(VALU_DEP_1)
	v_dual_lshrrev_b32 v4, 30, v8 :: v_dual_lshrrev_b32 v11, 31, v6
	v_dual_add_nc_u32 v10, v8, v4 :: v_dual_lshrrev_b32 v4, 31, v5
	s_delay_alu instid0(VALU_DEP_1) | instskip(NEXT) | instid1(VALU_DEP_1)
	v_dual_lshrrev_b32 v13, 31, v9 :: v_dual_add_nc_u32 v4, v5, v4
	v_dual_add_nc_u32 v5, v6, v11 :: v_dual_add_nc_u32 v6, v9, v13
	s_delay_alu instid0(VALU_DEP_2) | instskip(NEXT) | instid1(VALU_DEP_2)
	v_mul_lo_u32 v4, v4, 6
	v_mul_lo_u32 v5, v5, 6
	s_delay_alu instid0(VALU_DEP_3) | instskip(NEXT) | instid1(VALU_DEP_2)
	v_mul_lo_u32 v9, v6, 6
	v_dual_sub_nc_u32 v11, v3, v4 :: v_dual_sub_nc_u32 v4, v2, v5
	s_delay_alu instid0(VALU_DEP_1) | instskip(SKIP_1) | instid1(VALU_DEP_2)
	v_lshlrev_b32_e32 v6, 2, v11
	s_wait_kmcnt 0x0
	v_mad_nc_i64_i32 v[2:3], 0x90, v4, s[6:7]
	v_mad_nc_i64_i32 v[4:5], 0x900, v4, s[2:3]
	s_delay_alu instid0(VALU_DEP_3) | instskip(NEXT) | instid1(VALU_DEP_1)
	v_dual_sub_nc_u32 v13, v6, v12 :: v_dual_bitop2_b32 v6, -4, v10 bitop3:0x40
	v_add_nc_u32_e32 v10, v0, v13
	s_delay_alu instid0(VALU_DEP_2) | instskip(SKIP_1) | instid1(VALU_DEP_3)
	v_dual_sub_nc_u32 v6, v8, v6 :: v_dual_sub_nc_u32 v8, v7, v9
	v_mad_nc_i64_i32 v[2:3], v11, 24, v[2:3]
	v_mad_nc_i64_i32 v[4:5], 0x60, v10, v[4:5]
	s_delay_alu instid0(VALU_DEP_3) | instskip(NEXT) | instid1(VALU_DEP_4)
	v_ashrrev_i32_e32 v7, 31, v6
	v_lshl_add_u32 v10, v8, 2, v6
	s_delay_alu instid0(VALU_DEP_1) | instskip(NEXT) | instid1(VALU_DEP_1)
	v_dual_ashrrev_i32 v9, 31, v8 :: v_dual_ashrrev_i32 v11, 31, v10
	v_lshl_add_u64 v[2:3], v[8:9], 2, v[2:3]
	s_delay_alu instid0(VALU_DEP_2) | instskip(SKIP_4) | instid1(VALU_DEP_1)
	v_lshl_add_u64 v[4:5], v[10:11], 2, v[4:5]
	global_load_b32 v8, v[2:3], off
	global_load_b32 v9, v[4:5], off
	s_wait_xcnt 0x1
	v_sub_nc_u32_e32 v2, v0, v12
	v_dual_add_nc_u32 v0, 1, v0 :: v_dual_ashrrev_i32 v3, 31, v2
	s_delay_alu instid0(VALU_DEP_1)
	v_cmp_ge_i32_e32 vcc_lo, v0, v1
	s_or_b32 s8, vcc_lo, s8
	s_wait_loadcnt 0x0
	s_wait_xcnt 0x0
	v_mul_f32_e32 v4, v8, v9
	v_lshl_add_u64 v[2:3], v[2:3], 4, s[4:5]
	s_delay_alu instid0(VALU_DEP_1)
	v_lshl_add_u64 v[2:3], v[6:7], 2, v[2:3]
	global_atomic_add_f32 v[2:3], v4, off scope:SCOPE_DEV
	s_wait_xcnt 0x0
	s_and_not1_b32 exec_lo, exec_lo, s8
	s_cbranch_execnz .LBB13_2
.LBB13_3:
	s_endpgm
	.section	.rodata,"a",@progbits
	.p2align	6, 0x0
	.amdhsa_kernel _Z12bp_weight_s1PA4_A4_fPA6_A6_fPA24_A24_f
		.amdhsa_group_segment_fixed_size 0
		.amdhsa_private_segment_fixed_size 0
		.amdhsa_kernarg_size 280
		.amdhsa_user_sgpr_count 2
		.amdhsa_user_sgpr_dispatch_ptr 0
		.amdhsa_user_sgpr_queue_ptr 0
		.amdhsa_user_sgpr_kernarg_segment_ptr 1
		.amdhsa_user_sgpr_dispatch_id 0
		.amdhsa_user_sgpr_kernarg_preload_length 0
		.amdhsa_user_sgpr_kernarg_preload_offset 0
		.amdhsa_user_sgpr_private_segment_size 0
		.amdhsa_wavefront_size32 1
		.amdhsa_uses_dynamic_stack 0
		.amdhsa_enable_private_segment 0
		.amdhsa_system_sgpr_workgroup_id_x 1
		.amdhsa_system_sgpr_workgroup_id_y 0
		.amdhsa_system_sgpr_workgroup_id_z 0
		.amdhsa_system_sgpr_workgroup_info 0
		.amdhsa_system_vgpr_workitem_id 0
		.amdhsa_next_free_vgpr 14
		.amdhsa_next_free_sgpr 9
		.amdhsa_named_barrier_count 0
		.amdhsa_reserve_vcc 1
		.amdhsa_float_round_mode_32 0
		.amdhsa_float_round_mode_16_64 0
		.amdhsa_float_denorm_mode_32 3
		.amdhsa_float_denorm_mode_16_64 3
		.amdhsa_fp16_overflow 0
		.amdhsa_memory_ordered 1
		.amdhsa_forward_progress 1
		.amdhsa_inst_pref_size 8
		.amdhsa_round_robin_scheduling 0
		.amdhsa_exception_fp_ieee_invalid_op 0
		.amdhsa_exception_fp_denorm_src 0
		.amdhsa_exception_fp_ieee_div_zero 0
		.amdhsa_exception_fp_ieee_overflow 0
		.amdhsa_exception_fp_ieee_underflow 0
		.amdhsa_exception_fp_ieee_inexact 0
		.amdhsa_exception_int_div_zero 0
	.end_amdhsa_kernel
	.text
.Lfunc_end13:
	.size	_Z12bp_weight_s1PA4_A4_fPA6_A6_fPA24_A24_f, .Lfunc_end13-_Z12bp_weight_s1PA4_A4_fPA6_A6_fPA24_A24_f
                                        ; -- End function
	.set _Z12bp_weight_s1PA4_A4_fPA6_A6_fPA24_A24_f.num_vgpr, 14
	.set _Z12bp_weight_s1PA4_A4_fPA6_A6_fPA24_A24_f.num_agpr, 0
	.set _Z12bp_weight_s1PA4_A4_fPA6_A6_fPA24_A24_f.numbered_sgpr, 9
	.set _Z12bp_weight_s1PA4_A4_fPA6_A6_fPA24_A24_f.num_named_barrier, 0
	.set _Z12bp_weight_s1PA4_A4_fPA6_A6_fPA24_A24_f.private_seg_size, 0
	.set _Z12bp_weight_s1PA4_A4_fPA6_A6_fPA24_A24_f.uses_vcc, 1
	.set _Z12bp_weight_s1PA4_A4_fPA6_A6_fPA24_A24_f.uses_flat_scratch, 0
	.set _Z12bp_weight_s1PA4_A4_fPA6_A6_fPA24_A24_f.has_dyn_sized_stack, 0
	.set _Z12bp_weight_s1PA4_A4_fPA6_A6_fPA24_A24_f.has_recursion, 0
	.set _Z12bp_weight_s1PA4_A4_fPA6_A6_fPA24_A24_f.has_indirect_call, 0
	.section	.AMDGPU.csdata,"",@progbits
; Kernel info:
; codeLenInByte = 960
; TotalNumSgprs: 11
; NumVgprs: 14
; ScratchSize: 0
; MemoryBound: 0
; FloatMode: 240
; IeeeMode: 1
; LDSByteSize: 0 bytes/workgroup (compile time only)
; SGPRBlocks: 0
; VGPRBlocks: 0
; NumSGPRsForWavesPerEU: 11
; NumVGPRsForWavesPerEU: 14
; NamedBarCnt: 0
; Occupancy: 16
; WaveLimiterHint : 0
; COMPUTE_PGM_RSRC2:SCRATCH_EN: 0
; COMPUTE_PGM_RSRC2:USER_SGPR: 2
; COMPUTE_PGM_RSRC2:TRAP_HANDLER: 0
; COMPUTE_PGM_RSRC2:TGID_X_EN: 1
; COMPUTE_PGM_RSRC2:TGID_Y_EN: 0
; COMPUTE_PGM_RSRC2:TGID_Z_EN: 0
; COMPUTE_PGM_RSRC2:TIDIG_COMP_CNT: 0
	.text
	.protected	_Z10bp_bias_s1PfPA6_A6_f ; -- Begin function _Z10bp_bias_s1PfPA6_A6_f
	.globl	_Z10bp_bias_s1PfPA6_A6_f
	.p2align	8
	.type	_Z10bp_bias_s1PfPA6_A6_f,@function
_Z10bp_bias_s1PfPA6_A6_f:               ; @_Z10bp_bias_s1PfPA6_A6_f
; %bb.0:
	s_clause 0x1
	s_load_b32 s2, s[0:1], 0x1c
	s_load_b32 s3, s[0:1], 0x10
	s_bfe_u32 s4, ttmp6, 0x4000c
	s_and_b32 s5, ttmp6, 15
	s_add_co_i32 s4, s4, 1
	s_getreg_b32 s6, hwreg(HW_REG_IB_STS2, 6, 4)
	s_mul_i32 s4, ttmp9, s4
	s_delay_alu instid0(SALU_CYCLE_1)
	s_add_co_i32 s5, s5, s4
	s_wait_kmcnt 0x0
	s_and_b32 s2, s2, 0xffff
	s_cmp_eq_u32 s6, 0
	s_mul_i32 s3, s3, s2
	s_cselect_b32 s4, ttmp9, s5
	s_abs_i32 s5, s3
	v_mad_u32 v0, s4, s2, v0
	s_cvt_f32_u32 s2, s5
	s_sub_co_i32 s4, 0, s5
	s_ashr_i32 s3, s3, 31
	s_delay_alu instid0(SALU_CYCLE_1) | instskip(NEXT) | instid1(VALU_DEP_1)
	v_rcp_iflag_f32_e32 v1, s2
	v_mul_lo_u32 v0, 0xd8, v0
	s_delay_alu instid0(TRANS32_DEP_1) | instskip(SKIP_1) | instid1(SALU_CYCLE_3)
	v_readfirstlane_b32 s2, v1
	s_mul_f32 s2, s2, 0x4f7ffffe
	s_cvt_u32_f32 s2, s2
	v_add_nc_u32_e32 v2, 0xd8, v0
	v_sub_nc_u32_e32 v3, 0xffffff28, v0
	v_sub_nc_u32_e32 v1, 0, v0
	s_mul_i32 s4, s4, s2
	s_delay_alu instid0(SALU_CYCLE_1) | instskip(NEXT) | instid1(VALU_DEP_2)
	s_mul_hi_u32 s4, s2, s4
	v_max_i32_e32 v3, v2, v3
	s_delay_alu instid0(VALU_DEP_2) | instskip(SKIP_2) | instid1(VALU_DEP_2)
	v_dual_ashrrev_i32 v0, 31, v0 :: v_dual_max_i32 v1, v0, v1
	s_add_co_i32 s2, s2, s4
	s_mov_b32 s4, 0
	v_mul_hi_u32 v5, v3, s2
	s_delay_alu instid0(VALU_DEP_2) | instskip(NEXT) | instid1(VALU_DEP_2)
	v_mul_hi_u32 v4, v1, s2
	v_mul_lo_u32 v7, v5, s5
	s_delay_alu instid0(VALU_DEP_2) | instskip(NEXT) | instid1(VALU_DEP_2)
	v_mul_lo_u32 v6, v4, s5
	v_dual_sub_nc_u32 v3, v3, v7 :: v_dual_bitop2_b32 v0, s3, v0 bitop3:0x14
	s_delay_alu instid0(VALU_DEP_2) | instskip(NEXT) | instid1(VALU_DEP_2)
	v_dual_sub_nc_u32 v1, v1, v6 :: v_dual_add_nc_u32 v6, 1, v4
	v_subrev_nc_u32_e32 v8, s5, v3
	s_delay_alu instid0(VALU_DEP_2) | instskip(SKIP_1) | instid1(VALU_DEP_4)
	v_cmp_le_u32_e32 vcc_lo, s5, v1
	v_cmp_le_u32_e64 s2, s5, v3
	v_cndmask_b32_e32 v4, v4, v6, vcc_lo
	v_subrev_nc_u32_e32 v6, s5, v1
	s_delay_alu instid0(VALU_DEP_1) | instskip(NEXT) | instid1(VALU_DEP_3)
	v_dual_cndmask_b32 v1, v1, v6, vcc_lo :: v_dual_add_nc_u32 v7, 1, v5
	v_dual_ashrrev_i32 v2, 31, v2 :: v_dual_add_nc_u32 v6, 1, v4
	s_delay_alu instid0(VALU_DEP_2) | instskip(NEXT) | instid1(VALU_DEP_3)
	v_cmp_le_u32_e32 vcc_lo, s5, v1
	v_dual_cndmask_b32 v5, v5, v7, s2 :: v_dual_cndmask_b32 v3, v3, v8, s2
	s_mov_b32 s2, exec_lo
	s_delay_alu instid0(VALU_DEP_1) | instskip(NEXT) | instid1(VALU_DEP_2)
	v_dual_cndmask_b32 v1, v4, v6, vcc_lo :: v_dual_add_nc_u32 v7, 1, v5
	v_cmp_le_u32_e32 vcc_lo, s5, v3
	v_xor_b32_e32 v2, s3, v2
	s_delay_alu instid0(VALU_DEP_3) | instskip(NEXT) | instid1(VALU_DEP_4)
	v_xor_b32_e32 v1, v1, v0
	v_cndmask_b32_e32 v3, v5, v7, vcc_lo
	s_delay_alu instid0(VALU_DEP_1) | instskip(NEXT) | instid1(VALU_DEP_1)
	v_dual_sub_nc_u32 v0, v1, v0 :: v_dual_bitop2_b32 v3, v3, v2 bitop3:0x14
	v_sub_nc_u32_e32 v1, v3, v2
	s_delay_alu instid0(VALU_DEP_1)
	v_cmpx_lt_i32_e64 v0, v1
	s_cbranch_execz .LBB14_7
; %bb.1:
	s_load_b128 s[0:3], s[0:1], 0x0
	v_mov_b32_e32 v2, 0
	s_branch .LBB14_3
.LBB14_2:                               ;   in Loop: Header=BB14_3 Depth=1
	s_wait_xcnt 0x0
	s_or_b32 exec_lo, exec_lo, s5
	v_add_nc_u32_e32 v0, 1, v0
	s_delay_alu instid0(VALU_DEP_1) | instskip(SKIP_1) | instid1(SALU_CYCLE_1)
	v_cmp_ge_i32_e32 vcc_lo, v0, v1
	s_or_b32 s4, vcc_lo, s4
	s_and_not1_b32 exec_lo, exec_lo, s4
	s_cbranch_execz .LBB14_7
.LBB14_3:                               ; =>This Loop Header: Depth=1
                                        ;     Child Loop BB14_4 Depth 2
	v_mul_hi_i32 v3, 0x2aaaaaab, v0
	v_mul_hi_i32 v4, 0x38e38e39, v0
	s_mov_b32 s5, exec_lo
	s_brev_b32 s6, 1
	s_delay_alu instid0(VALU_DEP_1) | instskip(NEXT) | instid1(VALU_DEP_1)
	v_dual_lshrrev_b32 v5, 31, v3 :: v_dual_lshrrev_b32 v6, 31, v4
	v_dual_ashrrev_i32 v4, 3, v4 :: v_dual_add_nc_u32 v3, v3, v5
	s_delay_alu instid0(VALU_DEP_1) | instskip(SKIP_1) | instid1(VALU_DEP_2)
	v_mul_hi_i32 v5, 0x2aaaaaab, v3
	v_mul_lo_u32 v7, v3, 6
	v_dual_add_nc_u32 v6, v4, v6 :: v_dual_lshrrev_b32 v8, 31, v5
	s_delay_alu instid0(VALU_DEP_1) | instskip(NEXT) | instid1(VALU_DEP_2)
	v_mul_hi_i32 v4, 0x2aaaaaab, v6
	v_dual_sub_nc_u32 v7, v0, v7 :: v_dual_add_nc_u32 v5, v5, v8
	s_delay_alu instid0(VALU_DEP_1) | instskip(NEXT) | instid1(VALU_DEP_1)
	v_mul_lo_u32 v9, v5, 6
	v_dual_lshrrev_b32 v8, 31, v4 :: v_dual_sub_nc_u32 v3, v3, v9
	s_delay_alu instid0(VALU_DEP_1) | instskip(SKIP_2) | instid1(VALU_DEP_2)
	v_add_nc_u32_e32 v8, v4, v8
	s_wait_kmcnt 0x0
	v_mad_nc_i64_i32 v[4:5], 0x90, v7, s[2:3]
	v_mul_lo_u32 v7, v8, 6
	s_delay_alu instid0(VALU_DEP_2) | instskip(NEXT) | instid1(VALU_DEP_2)
	v_mad_nc_i64_i32 v[4:5], v3, 24, v[4:5]
	v_sub_nc_u32_e32 v6, v6, v7
	s_delay_alu instid0(VALU_DEP_1) | instskip(NEXT) | instid1(VALU_DEP_1)
	v_ashrrev_i32_e32 v7, 31, v6
	v_lshl_add_u64 v[4:5], v[6:7], 2, v[4:5]
	global_load_b32 v3, v[4:5], off
	s_wait_loadcnt 0x0
	v_mul_f32_e32 v3, 0x3dcccccd, v3
	s_wait_xcnt 0x0
	s_delay_alu instid0(VALU_DEP_1) | instskip(NEXT) | instid1(VALU_DEP_1)
	v_div_scale_f32 v4, null, 0x43580000, 0x43580000, v3
	v_rcp_f32_e32 v5, v4
	v_nop
	s_delay_alu instid0(TRANS32_DEP_1) | instskip(NEXT) | instid1(VALU_DEP_1)
	v_fma_f32 v6, -v4, v5, 1.0
	v_fmac_f32_e32 v5, v6, v5
	v_div_scale_f32 v6, vcc_lo, v3, 0x43580000, v3
	s_delay_alu instid0(VALU_DEP_1) | instskip(NEXT) | instid1(VALU_DEP_1)
	v_mul_f32_e32 v7, v6, v5
	v_fma_f32 v8, -v4, v7, v6
	s_delay_alu instid0(VALU_DEP_1) | instskip(NEXT) | instid1(VALU_DEP_1)
	v_fmac_f32_e32 v7, v8, v5
	v_fma_f32 v4, -v4, v7, v6
	s_delay_alu instid0(VALU_DEP_1) | instskip(NEXT) | instid1(VALU_DEP_1)
	v_div_fmas_f32 v4, v4, v5, v7
	v_div_fixup_f32 v3, v4, 0x43580000, v3
.LBB14_4:                               ;   Parent Loop BB14_3 Depth=1
                                        ; =>  This Inner Loop Header: Depth=2
	s_ctz_i32_b32 s7, s5
	s_delay_alu instid0(VALU_DEP_1) | instid1(SALU_CYCLE_1)
	v_readlane_b32 s8, v3, s7
	s_lshl_b32 s7, 1, s7
	s_delay_alu instid0(SALU_CYCLE_1) | instskip(NEXT) | instid1(SALU_CYCLE_1)
	s_and_not1_b32 s5, s5, s7
	s_cmp_lg_u32 s5, 0
	s_add_f32 s6, s6, s8
	s_cbranch_scc1 .LBB14_4
; %bb.5:                                ;   in Loop: Header=BB14_3 Depth=1
	v_mbcnt_lo_u32_b32 v3, exec_lo, 0
	s_mov_b32 s5, exec_lo
	s_delay_alu instid0(VALU_DEP_1)
	v_cmpx_eq_u32_e32 0, v3
	s_xor_b32 s5, exec_lo, s5
	s_cbranch_execz .LBB14_2
; %bb.6:                                ;   in Loop: Header=BB14_3 Depth=1
	v_mov_b32_e32 v3, s6
	global_atomic_add_f32 v2, v3, s[0:1] scope:SCOPE_DEV
	s_branch .LBB14_2
.LBB14_7:
	s_endpgm
	.section	.rodata,"a",@progbits
	.p2align	6, 0x0
	.amdhsa_kernel _Z10bp_bias_s1PfPA6_A6_f
		.amdhsa_group_segment_fixed_size 0
		.amdhsa_private_segment_fixed_size 0
		.amdhsa_kernarg_size 272
		.amdhsa_user_sgpr_count 2
		.amdhsa_user_sgpr_dispatch_ptr 0
		.amdhsa_user_sgpr_queue_ptr 0
		.amdhsa_user_sgpr_kernarg_segment_ptr 1
		.amdhsa_user_sgpr_dispatch_id 0
		.amdhsa_user_sgpr_kernarg_preload_length 0
		.amdhsa_user_sgpr_kernarg_preload_offset 0
		.amdhsa_user_sgpr_private_segment_size 0
		.amdhsa_wavefront_size32 1
		.amdhsa_uses_dynamic_stack 0
		.amdhsa_enable_private_segment 0
		.amdhsa_system_sgpr_workgroup_id_x 1
		.amdhsa_system_sgpr_workgroup_id_y 0
		.amdhsa_system_sgpr_workgroup_id_z 0
		.amdhsa_system_sgpr_workgroup_info 0
		.amdhsa_system_vgpr_workitem_id 0
		.amdhsa_next_free_vgpr 10
		.amdhsa_next_free_sgpr 9
		.amdhsa_named_barrier_count 0
		.amdhsa_reserve_vcc 1
		.amdhsa_float_round_mode_32 0
		.amdhsa_float_round_mode_16_64 0
		.amdhsa_float_denorm_mode_32 3
		.amdhsa_float_denorm_mode_16_64 3
		.amdhsa_fp16_overflow 0
		.amdhsa_memory_ordered 1
		.amdhsa_forward_progress 1
		.amdhsa_inst_pref_size 8
		.amdhsa_round_robin_scheduling 0
		.amdhsa_exception_fp_ieee_invalid_op 0
		.amdhsa_exception_fp_denorm_src 0
		.amdhsa_exception_fp_ieee_div_zero 0
		.amdhsa_exception_fp_ieee_overflow 0
		.amdhsa_exception_fp_ieee_underflow 0
		.amdhsa_exception_fp_ieee_inexact 0
		.amdhsa_exception_int_div_zero 0
	.end_amdhsa_kernel
	.text
.Lfunc_end14:
	.size	_Z10bp_bias_s1PfPA6_A6_f, .Lfunc_end14-_Z10bp_bias_s1PfPA6_A6_f
                                        ; -- End function
	.set _Z10bp_bias_s1PfPA6_A6_f.num_vgpr, 10
	.set _Z10bp_bias_s1PfPA6_A6_f.num_agpr, 0
	.set _Z10bp_bias_s1PfPA6_A6_f.numbered_sgpr, 9
	.set _Z10bp_bias_s1PfPA6_A6_f.num_named_barrier, 0
	.set _Z10bp_bias_s1PfPA6_A6_f.private_seg_size, 0
	.set _Z10bp_bias_s1PfPA6_A6_f.uses_vcc, 1
	.set _Z10bp_bias_s1PfPA6_A6_f.uses_flat_scratch, 0
	.set _Z10bp_bias_s1PfPA6_A6_f.has_dyn_sized_stack, 0
	.set _Z10bp_bias_s1PfPA6_A6_f.has_recursion, 0
	.set _Z10bp_bias_s1PfPA6_A6_f.has_indirect_call, 0
	.section	.AMDGPU.csdata,"",@progbits
; Kernel info:
; codeLenInByte = 908
; TotalNumSgprs: 11
; NumVgprs: 10
; ScratchSize: 0
; MemoryBound: 0
; FloatMode: 240
; IeeeMode: 1
; LDSByteSize: 0 bytes/workgroup (compile time only)
; SGPRBlocks: 0
; VGPRBlocks: 0
; NumSGPRsForWavesPerEU: 11
; NumVGPRsForWavesPerEU: 10
; NamedBarCnt: 0
; Occupancy: 16
; WaveLimiterHint : 0
; COMPUTE_PGM_RSRC2:SCRATCH_EN: 0
; COMPUTE_PGM_RSRC2:USER_SGPR: 2
; COMPUTE_PGM_RSRC2:TRAP_HANDLER: 0
; COMPUTE_PGM_RSRC2:TGID_X_EN: 1
; COMPUTE_PGM_RSRC2:TGID_Y_EN: 0
; COMPUTE_PGM_RSRC2:TGID_Z_EN: 0
; COMPUTE_PGM_RSRC2:TIDIG_COMP_CNT: 0
	.text
	.protected	_Z12bp_output_c1PA24_A24_fPA4_A4_fPA6_A6_f ; -- Begin function _Z12bp_output_c1PA24_A24_fPA4_A4_fPA6_A6_f
	.globl	_Z12bp_output_c1PA24_A24_fPA4_A4_fPA6_A6_f
	.p2align	8
	.type	_Z12bp_output_c1PA24_A24_fPA4_A4_fPA6_A6_f,@function
_Z12bp_output_c1PA24_A24_fPA4_A4_fPA6_A6_f: ; @_Z12bp_output_c1PA24_A24_fPA4_A4_fPA6_A6_f
; %bb.0:
	s_clause 0x1
	s_load_b32 s2, s[0:1], 0x24
	s_load_b32 s3, s[0:1], 0x18
	s_bfe_u32 s4, ttmp6, 0x4000c
	s_and_b32 s5, ttmp6, 15
	s_add_co_i32 s4, s4, 1
	s_getreg_b32 s6, hwreg(HW_REG_IB_STS2, 6, 4)
	s_mul_i32 s4, ttmp9, s4
	s_mov_b32 s8, 0
	s_add_co_i32 s5, s5, s4
	s_wait_kmcnt 0x0
	s_and_b32 s2, s2, 0xffff
	s_cmp_eq_u32 s6, 0
	s_mul_i32 s3, s3, s2
	s_cselect_b32 s4, ttmp9, s5
	s_abs_i32 s5, s3
	v_mad_u32 v0, s4, s2, v0
	s_cvt_f32_u32 s2, s5
	s_sub_co_i32 s4, 0, s5
	s_ashr_i32 s3, s3, 31
	s_delay_alu instid0(SALU_CYCLE_1) | instskip(NEXT) | instid1(VALU_DEP_1)
	v_rcp_iflag_f32_e32 v1, s2
	v_mul_lo_u32 v0, 0xd80, v0
	s_delay_alu instid0(TRANS32_DEP_1) | instskip(SKIP_1) | instid1(SALU_CYCLE_3)
	v_readfirstlane_b32 s2, v1
	s_mul_f32 s2, s2, 0x4f7ffffe
	s_cvt_u32_f32 s2, s2
	v_add_nc_u32_e32 v2, 0xd80, v0
	v_sub_nc_u32_e32 v3, 0xfffff280, v0
	v_sub_nc_u32_e32 v1, 0, v0
	s_mul_i32 s4, s4, s2
	s_delay_alu instid0(SALU_CYCLE_1) | instskip(NEXT) | instid1(VALU_DEP_2)
	s_mul_hi_u32 s4, s2, s4
	v_max_i32_e32 v3, v2, v3
	s_delay_alu instid0(VALU_DEP_2)
	v_dual_ashrrev_i32 v0, 31, v0 :: v_dual_max_i32 v1, v0, v1
	s_add_co_i32 s2, s2, s4
	s_delay_alu instid0(VALU_DEP_2) | instid1(SALU_CYCLE_1)
	v_mul_hi_u32 v5, v3, s2
	s_delay_alu instid0(VALU_DEP_2) | instskip(NEXT) | instid1(VALU_DEP_2)
	v_mul_hi_u32 v4, v1, s2
	v_mul_lo_u32 v7, v5, s5
	s_delay_alu instid0(VALU_DEP_2) | instskip(NEXT) | instid1(VALU_DEP_2)
	v_mul_lo_u32 v6, v4, s5
	v_dual_sub_nc_u32 v3, v3, v7 :: v_dual_bitop2_b32 v0, s3, v0 bitop3:0x14
	s_delay_alu instid0(VALU_DEP_2) | instskip(NEXT) | instid1(VALU_DEP_2)
	v_dual_sub_nc_u32 v1, v1, v6 :: v_dual_add_nc_u32 v6, 1, v4
	v_subrev_nc_u32_e32 v8, s5, v3
	s_delay_alu instid0(VALU_DEP_2) | instskip(SKIP_1) | instid1(VALU_DEP_4)
	v_cmp_le_u32_e32 vcc_lo, s5, v1
	v_cmp_le_u32_e64 s2, s5, v3
	v_cndmask_b32_e32 v4, v4, v6, vcc_lo
	v_subrev_nc_u32_e32 v6, s5, v1
	s_delay_alu instid0(VALU_DEP_1) | instskip(NEXT) | instid1(VALU_DEP_3)
	v_dual_cndmask_b32 v1, v1, v6, vcc_lo :: v_dual_add_nc_u32 v7, 1, v5
	v_dual_ashrrev_i32 v2, 31, v2 :: v_dual_add_nc_u32 v6, 1, v4
	s_delay_alu instid0(VALU_DEP_2) | instskip(NEXT) | instid1(VALU_DEP_3)
	v_cmp_le_u32_e32 vcc_lo, s5, v1
	v_dual_cndmask_b32 v5, v5, v7, s2 :: v_dual_cndmask_b32 v3, v3, v8, s2
	s_mov_b32 s2, exec_lo
	s_delay_alu instid0(VALU_DEP_1) | instskip(NEXT) | instid1(VALU_DEP_2)
	v_dual_cndmask_b32 v1, v4, v6, vcc_lo :: v_dual_add_nc_u32 v7, 1, v5
	v_cmp_le_u32_e32 vcc_lo, s5, v3
	v_xor_b32_e32 v2, s3, v2
	s_delay_alu instid0(VALU_DEP_3) | instskip(NEXT) | instid1(VALU_DEP_4)
	v_xor_b32_e32 v1, v1, v0
	v_cndmask_b32_e32 v3, v5, v7, vcc_lo
	s_delay_alu instid0(VALU_DEP_1) | instskip(NEXT) | instid1(VALU_DEP_1)
	v_dual_sub_nc_u32 v0, v1, v0 :: v_dual_bitop2_b32 v3, v3, v2 bitop3:0x14
	v_sub_nc_u32_e32 v1, v3, v2
	s_delay_alu instid0(VALU_DEP_1)
	v_cmpx_lt_i32_e64 v0, v1
	s_cbranch_execz .LBB15_3
; %bb.1:
	s_clause 0x1
	s_load_b128 s[4:7], s[0:1], 0x0
	s_load_b64 s[2:3], s[0:1], 0x10
.LBB15_2:                               ; =>This Inner Loop Header: Depth=1
	v_ashrrev_i32_e32 v2, 31, v0
	v_mul_hi_i32 v3, 0x2aaaaaab, v0
	v_mul_hi_i32 v4, 0x38e38e39, v0
	s_delay_alu instid0(VALU_DEP_3) | instskip(NEXT) | instid1(VALU_DEP_1)
	v_lshrrev_b32_e32 v5, 30, v2
	v_dual_add_nc_u32 v5, v0, v5 :: v_dual_lshrrev_b32 v2, 28, v2
	s_delay_alu instid0(VALU_DEP_4) | instskip(NEXT) | instid1(VALU_DEP_2)
	v_dual_lshrrev_b32 v6, 31, v3 :: v_dual_ashrrev_i32 v3, 4, v3
	v_dual_lshrrev_b32 v7, 31, v4 :: v_dual_ashrrev_i32 v8, 2, v5
	s_delay_alu instid0(VALU_DEP_3) | instskip(NEXT) | instid1(VALU_DEP_1)
	v_dual_add_nc_u32 v2, v0, v2 :: v_dual_bitop2_b32 v5, -4, v5 bitop3:0x40
	v_dual_ashrrev_i32 v4, 7, v4 :: v_dual_ashrrev_i32 v2, 4, v2
	s_delay_alu instid0(VALU_DEP_1) | instskip(NEXT) | instid1(VALU_DEP_2)
	v_dual_add_nc_u32 v6, v3, v6 :: v_dual_add_nc_u32 v7, v4, v7
	v_mul_hi_i32 v3, 0x2aaaaaab, v2
	s_delay_alu instid0(VALU_DEP_2) | instskip(NEXT) | instid1(VALU_DEP_3)
	v_mul_hi_i32 v4, 0x2aaaaaab, v6
	v_mul_hi_i32 v9, 0x2aaaaaab, v7
	s_delay_alu instid0(VALU_DEP_3) | instskip(NEXT) | instid1(VALU_DEP_1)
	v_lshrrev_b32_e32 v10, 31, v3
	v_dual_add_nc_u32 v3, v3, v10 :: v_dual_lshrrev_b32 v10, 31, v4
	s_delay_alu instid0(VALU_DEP_1) | instskip(NEXT) | instid1(VALU_DEP_2)
	v_mul_lo_u32 v3, v3, 6
	v_dual_add_nc_u32 v4, v4, v10 :: v_dual_lshrrev_b32 v10, 31, v9
	s_delay_alu instid0(VALU_DEP_1) | instskip(NEXT) | instid1(VALU_DEP_2)
	v_add_nc_u32_e32 v9, v9, v10
	v_mul_lo_u32 v10, v4, 6
	s_delay_alu instid0(VALU_DEP_4) | instskip(NEXT) | instid1(VALU_DEP_3)
	v_dual_lshrrev_b32 v4, 30, v8 :: v_dual_sub_nc_u32 v12, v2, v3
	v_mul_lo_u32 v9, v9, 6
	s_delay_alu instid0(VALU_DEP_2) | instskip(SKIP_4) | instid1(VALU_DEP_3)
	v_add_nc_u32_e32 v11, v8, v4
	v_sub_nc_u32_e32 v4, v0, v5
	s_wait_kmcnt 0x0
	v_mad_nc_i64_i32 v[2:3], 0x90, v12, s[2:3]
	v_dual_add_nc_u32 v0, 1, v0 :: v_dual_sub_nc_u32 v13, v6, v10
	v_dual_ashrrev_i32 v5, 31, v4 :: v_dual_bitop2_b32 v6, -4, v11 bitop3:0x40
	s_delay_alu instid0(VALU_DEP_2) | instskip(NEXT) | instid1(VALU_DEP_2)
	v_cmp_ge_i32_e32 vcc_lo, v0, v1
	v_dual_sub_nc_u32 v6, v8, v6 :: v_dual_sub_nc_u32 v8, v7, v9
	s_delay_alu instid0(VALU_DEP_4) | instskip(NEXT) | instid1(VALU_DEP_4)
	v_mad_nc_i64_i32 v[2:3], v13, 24, v[2:3]
	v_lshl_add_u64 v[10:11], v[4:5], 4, s[6:7]
	v_lshl_add_u32 v4, v13, 2, v4
	s_delay_alu instid0(VALU_DEP_4) | instskip(SKIP_1) | instid1(VALU_DEP_1)
	v_dual_ashrrev_i32 v7, 31, v6 :: v_dual_ashrrev_i32 v9, 31, v8
	s_or_b32 s8, vcc_lo, s8
	v_lshl_add_u64 v[10:11], v[6:7], 2, v[10:11]
	s_delay_alu instid0(VALU_DEP_2) | instskip(SKIP_4) | instid1(VALU_DEP_1)
	v_lshl_add_u64 v[2:3], v[8:9], 2, v[2:3]
	global_load_b32 v7, v[10:11], off
	global_load_b32 v9, v[2:3], off
	s_wait_xcnt 0x0
	v_mad_nc_i64_i32 v[2:3], 0x900, v12, s[4:5]
	v_mad_nc_i64_i32 v[2:3], 0x60, v4, v[2:3]
	v_lshl_add_u32 v4, v8, 2, v6
	s_delay_alu instid0(VALU_DEP_1) | instskip(NEXT) | instid1(VALU_DEP_1)
	v_ashrrev_i32_e32 v5, 31, v4
	v_lshl_add_u64 v[2:3], v[4:5], 2, v[2:3]
	s_wait_loadcnt 0x0
	v_mul_f32_e32 v4, v7, v9
	global_atomic_add_f32 v[2:3], v4, off scope:SCOPE_DEV
	s_wait_xcnt 0x0
	s_and_not1_b32 exec_lo, exec_lo, s8
	s_cbranch_execnz .LBB15_2
.LBB15_3:
	s_endpgm
	.section	.rodata,"a",@progbits
	.p2align	6, 0x0
	.amdhsa_kernel _Z12bp_output_c1PA24_A24_fPA4_A4_fPA6_A6_f
		.amdhsa_group_segment_fixed_size 0
		.amdhsa_private_segment_fixed_size 0
		.amdhsa_kernarg_size 280
		.amdhsa_user_sgpr_count 2
		.amdhsa_user_sgpr_dispatch_ptr 0
		.amdhsa_user_sgpr_queue_ptr 0
		.amdhsa_user_sgpr_kernarg_segment_ptr 1
		.amdhsa_user_sgpr_dispatch_id 0
		.amdhsa_user_sgpr_kernarg_preload_length 0
		.amdhsa_user_sgpr_kernarg_preload_offset 0
		.amdhsa_user_sgpr_private_segment_size 0
		.amdhsa_wavefront_size32 1
		.amdhsa_uses_dynamic_stack 0
		.amdhsa_enable_private_segment 0
		.amdhsa_system_sgpr_workgroup_id_x 1
		.amdhsa_system_sgpr_workgroup_id_y 0
		.amdhsa_system_sgpr_workgroup_id_z 0
		.amdhsa_system_sgpr_workgroup_info 0
		.amdhsa_system_vgpr_workitem_id 0
		.amdhsa_next_free_vgpr 14
		.amdhsa_next_free_sgpr 9
		.amdhsa_named_barrier_count 0
		.amdhsa_reserve_vcc 1
		.amdhsa_float_round_mode_32 0
		.amdhsa_float_round_mode_16_64 0
		.amdhsa_float_denorm_mode_32 3
		.amdhsa_float_denorm_mode_16_64 3
		.amdhsa_fp16_overflow 0
		.amdhsa_memory_ordered 1
		.amdhsa_forward_progress 1
		.amdhsa_inst_pref_size 8
		.amdhsa_round_robin_scheduling 0
		.amdhsa_exception_fp_ieee_invalid_op 0
		.amdhsa_exception_fp_denorm_src 0
		.amdhsa_exception_fp_ieee_div_zero 0
		.amdhsa_exception_fp_ieee_overflow 0
		.amdhsa_exception_fp_ieee_underflow 0
		.amdhsa_exception_fp_ieee_inexact 0
		.amdhsa_exception_int_div_zero 0
	.end_amdhsa_kernel
	.text
.Lfunc_end15:
	.size	_Z12bp_output_c1PA24_A24_fPA4_A4_fPA6_A6_f, .Lfunc_end15-_Z12bp_output_c1PA24_A24_fPA4_A4_fPA6_A6_f
                                        ; -- End function
	.set _Z12bp_output_c1PA24_A24_fPA4_A4_fPA6_A6_f.num_vgpr, 14
	.set _Z12bp_output_c1PA24_A24_fPA4_A4_fPA6_A6_f.num_agpr, 0
	.set _Z12bp_output_c1PA24_A24_fPA4_A4_fPA6_A6_f.numbered_sgpr, 9
	.set _Z12bp_output_c1PA24_A24_fPA4_A4_fPA6_A6_f.num_named_barrier, 0
	.set _Z12bp_output_c1PA24_A24_fPA4_A4_fPA6_A6_f.private_seg_size, 0
	.set _Z12bp_output_c1PA24_A24_fPA4_A4_fPA6_A6_f.uses_vcc, 1
	.set _Z12bp_output_c1PA24_A24_fPA4_A4_fPA6_A6_f.uses_flat_scratch, 0
	.set _Z12bp_output_c1PA24_A24_fPA4_A4_fPA6_A6_f.has_dyn_sized_stack, 0
	.set _Z12bp_output_c1PA24_A24_fPA4_A4_fPA6_A6_f.has_recursion, 0
	.set _Z12bp_output_c1PA24_A24_fPA4_A4_fPA6_A6_f.has_indirect_call, 0
	.section	.AMDGPU.csdata,"",@progbits
; Kernel info:
; codeLenInByte = 936
; TotalNumSgprs: 11
; NumVgprs: 14
; ScratchSize: 0
; MemoryBound: 0
; FloatMode: 240
; IeeeMode: 1
; LDSByteSize: 0 bytes/workgroup (compile time only)
; SGPRBlocks: 0
; VGPRBlocks: 0
; NumSGPRsForWavesPerEU: 11
; NumVGPRsForWavesPerEU: 14
; NamedBarCnt: 0
; Occupancy: 16
; WaveLimiterHint : 0
; COMPUTE_PGM_RSRC2:SCRATCH_EN: 0
; COMPUTE_PGM_RSRC2:USER_SGPR: 2
; COMPUTE_PGM_RSRC2:TRAP_HANDLER: 0
; COMPUTE_PGM_RSRC2:TGID_X_EN: 1
; COMPUTE_PGM_RSRC2:TGID_Y_EN: 0
; COMPUTE_PGM_RSRC2:TGID_Z_EN: 0
; COMPUTE_PGM_RSRC2:TIDIG_COMP_CNT: 0
	.text
	.protected	_Z12bp_preact_c1PA24_A24_fS1_S1_ ; -- Begin function _Z12bp_preact_c1PA24_A24_fS1_S1_
	.globl	_Z12bp_preact_c1PA24_A24_fS1_S1_
	.p2align	8
	.type	_Z12bp_preact_c1PA24_A24_fS1_S1_,@function
_Z12bp_preact_c1PA24_A24_fS1_S1_:       ; @_Z12bp_preact_c1PA24_A24_fS1_S1_
; %bb.0:
	s_clause 0x1
	s_load_b32 s2, s[0:1], 0x24
	s_load_b32 s3, s[0:1], 0x18
	s_bfe_u32 s4, ttmp6, 0x4000c
	s_and_b32 s5, ttmp6, 15
	s_add_co_i32 s4, s4, 1
	s_getreg_b32 s6, hwreg(HW_REG_IB_STS2, 6, 4)
	s_mul_i32 s4, ttmp9, s4
	s_mov_b32 s8, 0
	s_add_co_i32 s5, s5, s4
	s_wait_kmcnt 0x0
	s_and_b32 s2, s2, 0xffff
	s_cmp_eq_u32 s6, 0
	s_mul_i32 s3, s3, s2
	s_cselect_b32 s4, ttmp9, s5
	s_abs_i32 s5, s3
	v_mad_u32 v0, s4, s2, v0
	s_cvt_f32_u32 s2, s5
	s_sub_co_i32 s4, 0, s5
	s_ashr_i32 s3, s3, 31
	s_delay_alu instid0(SALU_CYCLE_1) | instskip(NEXT) | instid1(VALU_DEP_1)
	v_rcp_iflag_f32_e32 v1, s2
	v_mul_lo_u32 v0, 0xd80, v0
	s_delay_alu instid0(TRANS32_DEP_1) | instskip(SKIP_1) | instid1(SALU_CYCLE_3)
	v_readfirstlane_b32 s2, v1
	s_mul_f32 s2, s2, 0x4f7ffffe
	s_cvt_u32_f32 s2, s2
	v_add_nc_u32_e32 v2, 0xd80, v0
	v_sub_nc_u32_e32 v3, 0xfffff280, v0
	v_sub_nc_u32_e32 v1, 0, v0
	s_mul_i32 s4, s4, s2
	s_delay_alu instid0(SALU_CYCLE_1) | instskip(NEXT) | instid1(VALU_DEP_2)
	s_mul_hi_u32 s4, s2, s4
	v_max_i32_e32 v3, v2, v3
	s_delay_alu instid0(VALU_DEP_2)
	v_dual_ashrrev_i32 v0, 31, v0 :: v_dual_max_i32 v1, v0, v1
	s_add_co_i32 s2, s2, s4
	s_delay_alu instid0(VALU_DEP_2) | instid1(SALU_CYCLE_1)
	v_mul_hi_u32 v5, v3, s2
	s_delay_alu instid0(VALU_DEP_2) | instskip(NEXT) | instid1(VALU_DEP_2)
	v_mul_hi_u32 v4, v1, s2
	v_mul_lo_u32 v7, v5, s5
	s_delay_alu instid0(VALU_DEP_2) | instskip(NEXT) | instid1(VALU_DEP_2)
	v_mul_lo_u32 v6, v4, s5
	v_dual_sub_nc_u32 v3, v3, v7 :: v_dual_bitop2_b32 v0, s3, v0 bitop3:0x14
	s_delay_alu instid0(VALU_DEP_2) | instskip(NEXT) | instid1(VALU_DEP_2)
	v_dual_sub_nc_u32 v1, v1, v6 :: v_dual_add_nc_u32 v6, 1, v4
	v_subrev_nc_u32_e32 v8, s5, v3
	s_delay_alu instid0(VALU_DEP_2) | instskip(SKIP_1) | instid1(VALU_DEP_4)
	v_cmp_le_u32_e32 vcc_lo, s5, v1
	v_cmp_le_u32_e64 s2, s5, v3
	v_cndmask_b32_e32 v4, v4, v6, vcc_lo
	v_subrev_nc_u32_e32 v6, s5, v1
	s_delay_alu instid0(VALU_DEP_1) | instskip(NEXT) | instid1(VALU_DEP_3)
	v_dual_cndmask_b32 v1, v1, v6, vcc_lo :: v_dual_add_nc_u32 v7, 1, v5
	v_dual_ashrrev_i32 v2, 31, v2 :: v_dual_add_nc_u32 v6, 1, v4
	s_delay_alu instid0(VALU_DEP_2) | instskip(NEXT) | instid1(VALU_DEP_3)
	v_cmp_le_u32_e32 vcc_lo, s5, v1
	v_dual_cndmask_b32 v5, v5, v7, s2 :: v_dual_cndmask_b32 v3, v3, v8, s2
	s_mov_b32 s2, exec_lo
	s_delay_alu instid0(VALU_DEP_1) | instskip(NEXT) | instid1(VALU_DEP_2)
	v_dual_cndmask_b32 v1, v4, v6, vcc_lo :: v_dual_add_nc_u32 v7, 1, v5
	v_cmp_le_u32_e32 vcc_lo, s5, v3
	v_xor_b32_e32 v2, s3, v2
	s_delay_alu instid0(VALU_DEP_3) | instskip(NEXT) | instid1(VALU_DEP_4)
	v_xor_b32_e32 v1, v1, v0
	v_cndmask_b32_e32 v3, v5, v7, vcc_lo
	s_delay_alu instid0(VALU_DEP_1) | instskip(NEXT) | instid1(VALU_DEP_1)
	v_dual_sub_nc_u32 v0, v1, v0 :: v_dual_bitop2_b32 v3, v3, v2 bitop3:0x14
	v_sub_nc_u32_e32 v1, v3, v2
	s_delay_alu instid0(VALU_DEP_1)
	v_cmpx_lt_i32_e64 v0, v1
	s_cbranch_execz .LBB16_3
; %bb.1:
	s_clause 0x1
	s_load_b128 s[4:7], s[0:1], 0x0
	s_load_b64 s[2:3], s[0:1], 0x10
.LBB16_2:                               ; =>This Inner Loop Header: Depth=1
	v_mul_hi_i32 v2, 0x2aaaaaab, v0
	s_delay_alu instid0(VALU_DEP_1) | instskip(NEXT) | instid1(VALU_DEP_1)
	v_lshrrev_b32_e32 v3, 31, v2
	v_add_nc_u32_e32 v4, v2, v3
	v_mul_hi_i32 v3, 0x38e38e39, v0
	s_delay_alu instid0(VALU_DEP_1) | instskip(NEXT) | instid1(VALU_DEP_3)
	v_lshrrev_b32_e32 v5, 31, v3
	v_mul_hi_i32 v2, 0x2aaaaaab, v4
	v_ashrrev_i32_e32 v3, 5, v3
	s_delay_alu instid0(VALU_DEP_1) | instskip(SKIP_1) | instid1(VALU_DEP_2)
	v_dual_add_nc_u32 v7, v3, v5 :: v_dual_lshrrev_b32 v6, 31, v2
	v_lshrrev_b32_e32 v2, 2, v2
	v_mul_hi_i32 v8, 0x2aaaaaab, v7
	s_delay_alu instid0(VALU_DEP_2) | instskip(SKIP_2) | instid1(VALU_DEP_3)
	v_add_nc_u32_e32 v6, v2, v6
	v_mad_u32 v2, v4, -6, v0
	v_add_nc_u32_e32 v0, 1, v0
	v_mul_lo_u32 v6, v6, 24
	s_delay_alu instid0(VALU_DEP_1) | instskip(NEXT) | instid1(VALU_DEP_4)
	v_dual_sub_nc_u32 v4, v4, v6 :: v_dual_lshrrev_b32 v6, 31, v8
	v_dual_ashrrev_i32 v3, 31, v2 :: v_dual_lshrrev_b32 v8, 2, v8
	s_delay_alu instid0(VALU_DEP_2) | instskip(NEXT) | instid1(VALU_DEP_2)
	v_ashrrev_i32_e32 v5, 31, v4
	v_mul_u64_e32 v[2:3], 0x900, v[2:3]
	s_delay_alu instid0(VALU_DEP_3) | instskip(NEXT) | instid1(VALU_DEP_3)
	v_add_nc_u32_e32 v6, v8, v6
	v_mul_u64_e32 v[4:5], 0x60, v[4:5]
	s_delay_alu instid0(VALU_DEP_2) | instskip(NEXT) | instid1(VALU_DEP_1)
	v_mul_lo_u32 v6, v6, 24
	v_sub_nc_u32_e32 v6, v7, v6
	s_delay_alu instid0(VALU_DEP_1) | instskip(NEXT) | instid1(VALU_DEP_1)
	v_ashrrev_i32_e32 v7, 31, v6
	v_lshlrev_b64_e32 v[6:7], 2, v[6:7]
	s_wait_kmcnt 0x0
	v_add_nc_u64_e32 v[8:9], s[2:3], v[2:3]
	s_delay_alu instid0(VALU_DEP_1) | instskip(NEXT) | instid1(VALU_DEP_1)
	v_add_nc_u64_e32 v[8:9], v[8:9], v[4:5]
	v_add_nc_u64_e32 v[8:9], v[8:9], v[6:7]
	global_load_b32 v10, v[8:9], off
	s_wait_xcnt 0x0
	v_add_nc_u64_e32 v[8:9], s[6:7], v[2:3]
	v_add_nc_u64_e32 v[2:3], s[4:5], v[2:3]
	s_delay_alu instid0(VALU_DEP_2) | instskip(NEXT) | instid1(VALU_DEP_2)
	v_add_nc_u64_e32 v[8:9], v[8:9], v[4:5]
	v_add_nc_u64_e32 v[2:3], v[2:3], v[4:5]
	s_delay_alu instid0(VALU_DEP_2) | instskip(NEXT) | instid1(VALU_DEP_2)
	v_add_nc_u64_e32 v[8:9], v[8:9], v[6:7]
	v_add_nc_u64_e32 v[2:3], v[2:3], v[6:7]
	global_load_b32 v8, v[8:9], off
	s_wait_loadcnt 0x1
	s_wait_xcnt 0x0
	v_mul_f32_e32 v9, 0xbfb8aa3b, v10
	v_cmp_nlt_f32_e32 vcc_lo, 0x42ce8ed0, v10
	s_delay_alu instid0(VALU_DEP_2) | instskip(SKIP_1) | instid1(VALU_DEP_2)
	v_fma_f32 v11, 0xbfb8aa3b, v10, -v9
	v_rndne_f32_e32 v12, v9
	v_fmac_f32_e32 v11, 0xb2a5705f, v10
	s_delay_alu instid0(VALU_DEP_2) | instskip(NEXT) | instid1(VALU_DEP_1)
	v_sub_f32_e32 v9, v9, v12
	v_add_f32_e32 v9, v9, v11
	v_cvt_i32_f32_e32 v11, v12
	s_delay_alu instid0(VALU_DEP_2) | instskip(SKIP_1) | instid1(TRANS32_DEP_1)
	v_exp_f32_e32 v9, v9
	v_nop
	v_ldexp_f32 v9, v9, v11
	s_delay_alu instid0(VALU_DEP_1) | instskip(SKIP_1) | instid1(VALU_DEP_2)
	v_cndmask_b32_e32 v9, 0, v9, vcc_lo
	v_cmp_ngt_f32_e32 vcc_lo, 0xc2b17218, v10
	v_cndmask_b32_e32 v9, 0x7f800000, v9, vcc_lo
	s_delay_alu instid0(VALU_DEP_1) | instskip(NEXT) | instid1(VALU_DEP_1)
	v_add_f32_e32 v9, 1.0, v9
	v_div_scale_f32 v10, null, v9, v9, 1.0
	v_div_scale_f32 v13, vcc_lo, 1.0, v9, 1.0
	s_delay_alu instid0(VALU_DEP_2) | instskip(SKIP_1) | instid1(TRANS32_DEP_1)
	v_rcp_f32_e32 v11, v10
	v_nop
	v_fma_f32 v12, -v10, v11, 1.0
	s_delay_alu instid0(VALU_DEP_1) | instskip(NEXT) | instid1(VALU_DEP_1)
	v_fmac_f32_e32 v11, v12, v11
	v_mul_f32_e32 v12, v13, v11
	s_delay_alu instid0(VALU_DEP_1) | instskip(NEXT) | instid1(VALU_DEP_1)
	v_fma_f32 v14, -v10, v12, v13
	v_fmac_f32_e32 v12, v14, v11
	s_delay_alu instid0(VALU_DEP_1) | instskip(NEXT) | instid1(VALU_DEP_1)
	v_fma_f32 v10, -v10, v12, v13
	v_div_fmas_f32 v10, v10, v11, v12
	v_cmp_ge_i32_e32 vcc_lo, v0, v1
	s_delay_alu instid0(VALU_DEP_2) | instskip(SKIP_2) | instid1(VALU_DEP_1)
	v_div_fixup_f32 v9, v10, v9, 1.0
	s_or_b32 s8, vcc_lo, s8
	s_wait_loadcnt 0x0
	v_dual_mul_f32 v4, v8, v9 :: v_dual_sub_f32 v5, 1.0, v9
	s_delay_alu instid0(VALU_DEP_1)
	v_mul_f32_e32 v4, v4, v5
	global_store_b32 v[2:3], v4, off
	s_wait_xcnt 0x0
	s_and_not1_b32 exec_lo, exec_lo, s8
	s_cbranch_execnz .LBB16_2
.LBB16_3:
	s_endpgm
	.section	.rodata,"a",@progbits
	.p2align	6, 0x0
	.amdhsa_kernel _Z12bp_preact_c1PA24_A24_fS1_S1_
		.amdhsa_group_segment_fixed_size 0
		.amdhsa_private_segment_fixed_size 0
		.amdhsa_kernarg_size 280
		.amdhsa_user_sgpr_count 2
		.amdhsa_user_sgpr_dispatch_ptr 0
		.amdhsa_user_sgpr_queue_ptr 0
		.amdhsa_user_sgpr_kernarg_segment_ptr 1
		.amdhsa_user_sgpr_dispatch_id 0
		.amdhsa_user_sgpr_kernarg_preload_length 0
		.amdhsa_user_sgpr_kernarg_preload_offset 0
		.amdhsa_user_sgpr_private_segment_size 0
		.amdhsa_wavefront_size32 1
		.amdhsa_uses_dynamic_stack 0
		.amdhsa_enable_private_segment 0
		.amdhsa_system_sgpr_workgroup_id_x 1
		.amdhsa_system_sgpr_workgroup_id_y 0
		.amdhsa_system_sgpr_workgroup_id_z 0
		.amdhsa_system_sgpr_workgroup_info 0
		.amdhsa_system_vgpr_workitem_id 0
		.amdhsa_next_free_vgpr 15
		.amdhsa_next_free_sgpr 9
		.amdhsa_named_barrier_count 0
		.amdhsa_reserve_vcc 1
		.amdhsa_float_round_mode_32 0
		.amdhsa_float_round_mode_16_64 0
		.amdhsa_float_denorm_mode_32 3
		.amdhsa_float_denorm_mode_16_64 3
		.amdhsa_fp16_overflow 0
		.amdhsa_memory_ordered 1
		.amdhsa_forward_progress 1
		.amdhsa_inst_pref_size 8
		.amdhsa_round_robin_scheduling 0
		.amdhsa_exception_fp_ieee_invalid_op 0
		.amdhsa_exception_fp_denorm_src 0
		.amdhsa_exception_fp_ieee_div_zero 0
		.amdhsa_exception_fp_ieee_overflow 0
		.amdhsa_exception_fp_ieee_underflow 0
		.amdhsa_exception_fp_ieee_inexact 0
		.amdhsa_exception_int_div_zero 0
	.end_amdhsa_kernel
	.text
.Lfunc_end16:
	.size	_Z12bp_preact_c1PA24_A24_fS1_S1_, .Lfunc_end16-_Z12bp_preact_c1PA24_A24_fS1_S1_
                                        ; -- End function
	.set _Z12bp_preact_c1PA24_A24_fS1_S1_.num_vgpr, 15
	.set _Z12bp_preact_c1PA24_A24_fS1_S1_.num_agpr, 0
	.set _Z12bp_preact_c1PA24_A24_fS1_S1_.numbered_sgpr, 9
	.set _Z12bp_preact_c1PA24_A24_fS1_S1_.num_named_barrier, 0
	.set _Z12bp_preact_c1PA24_A24_fS1_S1_.private_seg_size, 0
	.set _Z12bp_preact_c1PA24_A24_fS1_S1_.uses_vcc, 1
	.set _Z12bp_preact_c1PA24_A24_fS1_S1_.uses_flat_scratch, 0
	.set _Z12bp_preact_c1PA24_A24_fS1_S1_.has_dyn_sized_stack, 0
	.set _Z12bp_preact_c1PA24_A24_fS1_S1_.has_recursion, 0
	.set _Z12bp_preact_c1PA24_A24_fS1_S1_.has_indirect_call, 0
	.section	.AMDGPU.csdata,"",@progbits
; Kernel info:
; codeLenInByte = 1000
; TotalNumSgprs: 11
; NumVgprs: 15
; ScratchSize: 0
; MemoryBound: 0
; FloatMode: 240
; IeeeMode: 1
; LDSByteSize: 0 bytes/workgroup (compile time only)
; SGPRBlocks: 0
; VGPRBlocks: 0
; NumSGPRsForWavesPerEU: 11
; NumVGPRsForWavesPerEU: 15
; NamedBarCnt: 0
; Occupancy: 16
; WaveLimiterHint : 0
; COMPUTE_PGM_RSRC2:SCRATCH_EN: 0
; COMPUTE_PGM_RSRC2:USER_SGPR: 2
; COMPUTE_PGM_RSRC2:TRAP_HANDLER: 0
; COMPUTE_PGM_RSRC2:TGID_X_EN: 1
; COMPUTE_PGM_RSRC2:TGID_Y_EN: 0
; COMPUTE_PGM_RSRC2:TGID_Z_EN: 0
; COMPUTE_PGM_RSRC2:TIDIG_COMP_CNT: 0
	.text
	.protected	_Z12bp_weight_c1PA5_A5_fPA24_A24_fPA28_f ; -- Begin function _Z12bp_weight_c1PA5_A5_fPA24_A24_fPA28_f
	.globl	_Z12bp_weight_c1PA5_A5_fPA24_A24_fPA28_f
	.p2align	8
	.type	_Z12bp_weight_c1PA5_A5_fPA24_A24_fPA28_f,@function
_Z12bp_weight_c1PA5_A5_fPA24_A24_fPA28_f: ; @_Z12bp_weight_c1PA5_A5_fPA24_A24_fPA28_f
; %bb.0:
	s_clause 0x1
	s_load_b32 s2, s[0:1], 0x24
	s_load_b32 s3, s[0:1], 0x18
	s_bfe_u32 s4, ttmp6, 0x4000c
	s_and_b32 s5, ttmp6, 15
	s_add_co_i32 s4, s4, 1
	s_getreg_b32 s6, hwreg(HW_REG_IB_STS2, 6, 4)
	s_mul_i32 s4, ttmp9, s4
	s_mov_b32 s8, 0
	s_add_co_i32 s5, s5, s4
	s_wait_kmcnt 0x0
	s_and_b32 s2, s2, 0xffff
	s_cmp_eq_u32 s6, 0
	s_mul_i32 s3, s3, s2
	s_cselect_b32 s4, ttmp9, s5
	s_abs_i32 s5, s3
	v_mad_u32 v0, s4, s2, v0
	s_cvt_f32_u32 s2, s5
	s_sub_co_i32 s4, 0, s5
	s_ashr_i32 s3, s3, 31
	s_delay_alu instid0(SALU_CYCLE_1) | instskip(NEXT) | instid1(VALU_DEP_1)
	v_rcp_iflag_f32_e32 v1, s2
	v_mul_lo_u32 v0, 0x15180, v0
	s_delay_alu instid0(TRANS32_DEP_1) | instskip(SKIP_1) | instid1(SALU_CYCLE_3)
	v_readfirstlane_b32 s2, v1
	s_mul_f32 s2, s2, 0x4f7ffffe
	s_cvt_u32_f32 s2, s2
	v_add_nc_u32_e32 v2, 0x15180, v0
	v_sub_nc_u32_e32 v3, 0xfffeae80, v0
	v_sub_nc_u32_e32 v1, 0, v0
	s_mul_i32 s4, s4, s2
	s_delay_alu instid0(SALU_CYCLE_1) | instskip(NEXT) | instid1(VALU_DEP_2)
	s_mul_hi_u32 s4, s2, s4
	v_max_i32_e32 v3, v2, v3
	s_delay_alu instid0(VALU_DEP_2)
	v_dual_ashrrev_i32 v0, 31, v0 :: v_dual_max_i32 v1, v0, v1
	s_add_co_i32 s2, s2, s4
	s_delay_alu instid0(VALU_DEP_2) | instid1(SALU_CYCLE_1)
	v_mul_hi_u32 v5, v3, s2
	s_delay_alu instid0(VALU_DEP_2) | instskip(NEXT) | instid1(VALU_DEP_2)
	v_mul_hi_u32 v4, v1, s2
	v_mul_lo_u32 v7, v5, s5
	s_delay_alu instid0(VALU_DEP_2) | instskip(NEXT) | instid1(VALU_DEP_2)
	v_mul_lo_u32 v6, v4, s5
	v_dual_sub_nc_u32 v3, v3, v7 :: v_dual_bitop2_b32 v0, s3, v0 bitop3:0x14
	s_delay_alu instid0(VALU_DEP_2) | instskip(NEXT) | instid1(VALU_DEP_2)
	v_dual_sub_nc_u32 v1, v1, v6 :: v_dual_add_nc_u32 v6, 1, v4
	v_subrev_nc_u32_e32 v8, s5, v3
	s_delay_alu instid0(VALU_DEP_2) | instskip(SKIP_1) | instid1(VALU_DEP_4)
	v_cmp_le_u32_e32 vcc_lo, s5, v1
	v_cmp_le_u32_e64 s2, s5, v3
	v_cndmask_b32_e32 v4, v4, v6, vcc_lo
	v_subrev_nc_u32_e32 v6, s5, v1
	s_delay_alu instid0(VALU_DEP_1) | instskip(NEXT) | instid1(VALU_DEP_3)
	v_dual_cndmask_b32 v1, v1, v6, vcc_lo :: v_dual_add_nc_u32 v7, 1, v5
	v_dual_ashrrev_i32 v2, 31, v2 :: v_dual_add_nc_u32 v6, 1, v4
	s_delay_alu instid0(VALU_DEP_2) | instskip(NEXT) | instid1(VALU_DEP_3)
	v_cmp_le_u32_e32 vcc_lo, s5, v1
	v_dual_cndmask_b32 v5, v5, v7, s2 :: v_dual_cndmask_b32 v3, v3, v8, s2
	s_mov_b32 s2, exec_lo
	s_delay_alu instid0(VALU_DEP_1) | instskip(NEXT) | instid1(VALU_DEP_2)
	v_dual_cndmask_b32 v1, v4, v6, vcc_lo :: v_dual_add_nc_u32 v7, 1, v5
	v_cmp_le_u32_e32 vcc_lo, s5, v3
	v_xor_b32_e32 v2, s3, v2
	s_delay_alu instid0(VALU_DEP_3) | instskip(NEXT) | instid1(VALU_DEP_4)
	v_xor_b32_e32 v1, v1, v0
	v_cndmask_b32_e32 v3, v5, v7, vcc_lo
	s_delay_alu instid0(VALU_DEP_1) | instskip(NEXT) | instid1(VALU_DEP_1)
	v_dual_sub_nc_u32 v0, v1, v0 :: v_dual_bitop2_b32 v3, v3, v2 bitop3:0x14
	v_sub_nc_u32_e32 v1, v3, v2
	s_delay_alu instid0(VALU_DEP_1)
	v_cmpx_lt_i32_e64 v0, v1
	s_cbranch_execz .LBB17_3
; %bb.1:
	s_clause 0x1
	s_load_b128 s[4:7], s[0:1], 0x0
	s_load_b64 s[2:3], s[0:1], 0x10
.LBB17_2:                               ; =>This Inner Loop Header: Depth=1
	v_mul_hi_i32 v2, 0x2aaaaaab, v0
	v_mul_hi_i32 v3, 0x1b4e81b5, v0
	;; [unrolled: 1-line block ×4, first 2 shown]
	s_delay_alu instid0(VALU_DEP_3) | instskip(NEXT) | instid1(VALU_DEP_3)
	v_dual_lshrrev_b32 v6, 31, v2 :: v_dual_lshrrev_b32 v7, 31, v3
	v_dual_ashrrev_i32 v3, 4, v3 :: v_dual_add_nc_u32 v4, v4, v0
	s_delay_alu instid0(VALU_DEP_2) | instskip(NEXT) | instid1(VALU_DEP_2)
	v_dual_add_nc_u32 v5, v5, v0 :: v_dual_add_nc_u32 v6, v2, v6
	v_dual_add_nc_u32 v7, v3, v7 :: v_dual_lshrrev_b32 v2, 31, v4
	s_delay_alu instid0(VALU_DEP_2) | instskip(SKIP_1) | instid1(VALU_DEP_3)
	v_dual_ashrrev_i32 v3, 11, v4 :: v_dual_lshrrev_b32 v4, 31, v5
	v_ashrrev_i32_e32 v5, 4, v5
	v_mul_hi_i32 v8, 0x2aaaaaab, v7
	v_mad_u32 v12, v6, -6, v0
	s_delay_alu instid0(VALU_DEP_4) | instskip(SKIP_3) | instid1(VALU_DEP_4)
	v_add_nc_u32_e32 v9, v3, v2
	v_mul_hi_i32 v2, 0x66666667, v6
	v_add_nc_u32_e32 v4, v5, v4
	v_add_nc_u32_e32 v0, 1, v0
	v_mul_hi_i32 v5, 0x2aaaaaab, v9
	v_dual_lshrrev_b32 v11, 31, v8 :: v_dual_lshrrev_b32 v8, 2, v8
	v_lshrrev_b32_e32 v13, 31, v2
	v_mul_hi_i32 v10, 0x66666667, v4
	s_delay_alu instid0(VALU_DEP_3) | instskip(SKIP_3) | instid1(VALU_DEP_3)
	v_dual_ashrrev_i32 v14, 1, v2 :: v_dual_add_nc_u32 v8, v8, v11
	v_dual_lshrrev_b32 v11, 31, v5 :: v_dual_lshrrev_b32 v5, 2, v5
	s_wait_kmcnt 0x0
	v_mad_nc_i64_i32 v[2:3], 0x900, v12, s[6:7]
	v_add_nc_u32_e32 v13, v14, v13
	v_mul_lo_u32 v8, v8, 24
	v_dual_add_nc_u32 v5, v5, v11 :: v_dual_lshrrev_b32 v14, 31, v10
	v_ashrrev_i32_e32 v10, 1, v10
	s_delay_alu instid0(VALU_DEP_4) | instskip(NEXT) | instid1(VALU_DEP_3)
	v_lshl_add_u32 v11, v13, 2, v13
	v_mul_lo_u32 v5, v5, 24
	s_delay_alu instid0(VALU_DEP_3) | instskip(NEXT) | instid1(VALU_DEP_3)
	v_dual_add_nc_u32 v10, v10, v14 :: v_dual_sub_nc_u32 v7, v7, v8
	v_sub_nc_u32_e32 v13, v6, v11
	s_delay_alu instid0(VALU_DEP_2) | instskip(NEXT) | instid1(VALU_DEP_3)
	v_lshl_add_u32 v6, v10, 2, v10
	v_mad_nc_i64_i32 v[2:3], 0x60, v7, v[2:3]
	s_delay_alu instid0(VALU_DEP_2) | instskip(NEXT) | instid1(VALU_DEP_1)
	v_dual_sub_nc_u32 v4, v4, v6 :: v_dual_sub_nc_u32 v6, v9, v5
	v_dual_add_nc_u32 v8, v7, v13 :: v_dual_add_nc_u32 v10, v6, v4
	s_delay_alu instid0(VALU_DEP_1) | instskip(NEXT) | instid1(VALU_DEP_2)
	v_mad_nc_i64_i32 v[8:9], 0x70, v8, s[2:3]
	v_ashrrev_i32_e32 v11, 31, v10
	v_ashrrev_i32_e32 v7, 31, v6
	s_delay_alu instid0(VALU_DEP_1) | instskip(NEXT) | instid1(VALU_DEP_3)
	v_lshl_add_u64 v[2:3], v[6:7], 2, v[2:3]
	v_lshl_add_u64 v[6:7], v[10:11], 2, v[8:9]
	global_load_b32 v5, v[2:3], off
	global_load_b32 v8, v[6:7], off
	s_wait_loadcnt 0x0
	s_wait_xcnt 0x0
	v_mul_f32_e32 v6, v5, v8
	s_delay_alu instid0(VALU_DEP_1) | instskip(SKIP_1) | instid1(VALU_DEP_2)
	v_div_scale_f32 v5, null, 0x44100000, 0x44100000, v6
	v_div_scale_f32 v8, vcc_lo, v6, 0x44100000, v6
	v_rcp_f32_e32 v7, v5
	v_nop
	s_delay_alu instid0(TRANS32_DEP_1) | instskip(NEXT) | instid1(VALU_DEP_1)
	v_fma_f32 v2, -v5, v7, 1.0
	v_fmac_f32_e32 v7, v2, v7
	v_mad_nc_i64_i32 v[2:3], 0x64, v12, s[4:5]
	s_delay_alu instid0(VALU_DEP_2) | instskip(NEXT) | instid1(VALU_DEP_1)
	v_mul_f32_e32 v9, v8, v7
	v_fma_f32 v10, -v5, v9, v8
	s_delay_alu instid0(VALU_DEP_3) | instskip(NEXT) | instid1(VALU_DEP_2)
	v_mad_nc_i64_i32 v[2:3], v13, 20, v[2:3]
	v_fmac_f32_e32 v9, v10, v7
	s_delay_alu instid0(VALU_DEP_1) | instskip(NEXT) | instid1(VALU_DEP_1)
	v_dual_fma_f32 v8, -v5, v9, v8 :: v_dual_ashrrev_i32 v5, 31, v4
	v_div_fmas_f32 v7, v8, v7, v9
	s_delay_alu instid0(VALU_DEP_2) | instskip(SKIP_1) | instid1(VALU_DEP_3)
	v_lshl_add_u64 v[2:3], v[4:5], 2, v[2:3]
	v_cmp_ge_i32_e32 vcc_lo, v0, v1
	v_div_fixup_f32 v4, v7, 0x44100000, v6
	s_or_b32 s8, vcc_lo, s8
	global_atomic_add_f32 v[2:3], v4, off scope:SCOPE_DEV
	s_wait_xcnt 0x0
	s_and_not1_b32 exec_lo, exec_lo, s8
	s_cbranch_execnz .LBB17_2
.LBB17_3:
	s_endpgm
	.section	.rodata,"a",@progbits
	.p2align	6, 0x0
	.amdhsa_kernel _Z12bp_weight_c1PA5_A5_fPA24_A24_fPA28_f
		.amdhsa_group_segment_fixed_size 0
		.amdhsa_private_segment_fixed_size 0
		.amdhsa_kernarg_size 280
		.amdhsa_user_sgpr_count 2
		.amdhsa_user_sgpr_dispatch_ptr 0
		.amdhsa_user_sgpr_queue_ptr 0
		.amdhsa_user_sgpr_kernarg_segment_ptr 1
		.amdhsa_user_sgpr_dispatch_id 0
		.amdhsa_user_sgpr_kernarg_preload_length 0
		.amdhsa_user_sgpr_kernarg_preload_offset 0
		.amdhsa_user_sgpr_private_segment_size 0
		.amdhsa_wavefront_size32 1
		.amdhsa_uses_dynamic_stack 0
		.amdhsa_enable_private_segment 0
		.amdhsa_system_sgpr_workgroup_id_x 1
		.amdhsa_system_sgpr_workgroup_id_y 0
		.amdhsa_system_sgpr_workgroup_id_z 0
		.amdhsa_system_sgpr_workgroup_info 0
		.amdhsa_system_vgpr_workitem_id 0
		.amdhsa_next_free_vgpr 15
		.amdhsa_next_free_sgpr 9
		.amdhsa_named_barrier_count 0
		.amdhsa_reserve_vcc 1
		.amdhsa_float_round_mode_32 0
		.amdhsa_float_round_mode_16_64 0
		.amdhsa_float_denorm_mode_32 3
		.amdhsa_float_denorm_mode_16_64 3
		.amdhsa_fp16_overflow 0
		.amdhsa_memory_ordered 1
		.amdhsa_forward_progress 1
		.amdhsa_inst_pref_size 9
		.amdhsa_round_robin_scheduling 0
		.amdhsa_exception_fp_ieee_invalid_op 0
		.amdhsa_exception_fp_denorm_src 0
		.amdhsa_exception_fp_ieee_div_zero 0
		.amdhsa_exception_fp_ieee_overflow 0
		.amdhsa_exception_fp_ieee_underflow 0
		.amdhsa_exception_fp_ieee_inexact 0
		.amdhsa_exception_int_div_zero 0
	.end_amdhsa_kernel
	.text
.Lfunc_end17:
	.size	_Z12bp_weight_c1PA5_A5_fPA24_A24_fPA28_f, .Lfunc_end17-_Z12bp_weight_c1PA5_A5_fPA24_A24_fPA28_f
                                        ; -- End function
	.set _Z12bp_weight_c1PA5_A5_fPA24_A24_fPA28_f.num_vgpr, 15
	.set _Z12bp_weight_c1PA5_A5_fPA24_A24_fPA28_f.num_agpr, 0
	.set _Z12bp_weight_c1PA5_A5_fPA24_A24_fPA28_f.numbered_sgpr, 9
	.set _Z12bp_weight_c1PA5_A5_fPA24_A24_fPA28_f.num_named_barrier, 0
	.set _Z12bp_weight_c1PA5_A5_fPA24_A24_fPA28_f.private_seg_size, 0
	.set _Z12bp_weight_c1PA5_A5_fPA24_A24_fPA28_f.uses_vcc, 1
	.set _Z12bp_weight_c1PA5_A5_fPA24_A24_fPA28_f.uses_flat_scratch, 0
	.set _Z12bp_weight_c1PA5_A5_fPA24_A24_fPA28_f.has_dyn_sized_stack, 0
	.set _Z12bp_weight_c1PA5_A5_fPA24_A24_fPA28_f.has_recursion, 0
	.set _Z12bp_weight_c1PA5_A5_fPA24_A24_fPA28_f.has_indirect_call, 0
	.section	.AMDGPU.csdata,"",@progbits
; Kernel info:
; codeLenInByte = 1076
; TotalNumSgprs: 11
; NumVgprs: 15
; ScratchSize: 0
; MemoryBound: 0
; FloatMode: 240
; IeeeMode: 1
; LDSByteSize: 0 bytes/workgroup (compile time only)
; SGPRBlocks: 0
; VGPRBlocks: 0
; NumSGPRsForWavesPerEU: 11
; NumVGPRsForWavesPerEU: 15
; NamedBarCnt: 0
; Occupancy: 16
; WaveLimiterHint : 0
; COMPUTE_PGM_RSRC2:SCRATCH_EN: 0
; COMPUTE_PGM_RSRC2:USER_SGPR: 2
; COMPUTE_PGM_RSRC2:TRAP_HANDLER: 0
; COMPUTE_PGM_RSRC2:TGID_X_EN: 1
; COMPUTE_PGM_RSRC2:TGID_Y_EN: 0
; COMPUTE_PGM_RSRC2:TGID_Z_EN: 0
; COMPUTE_PGM_RSRC2:TIDIG_COMP_CNT: 0
	.text
	.protected	_Z10bp_bias_c1PfPA24_A24_f ; -- Begin function _Z10bp_bias_c1PfPA24_A24_f
	.globl	_Z10bp_bias_c1PfPA24_A24_f
	.p2align	8
	.type	_Z10bp_bias_c1PfPA24_A24_f,@function
_Z10bp_bias_c1PfPA24_A24_f:             ; @_Z10bp_bias_c1PfPA24_A24_f
; %bb.0:
	s_clause 0x1
	s_load_b32 s2, s[0:1], 0x1c
	s_load_b32 s3, s[0:1], 0x10
	s_bfe_u32 s4, ttmp6, 0x4000c
	s_and_b32 s5, ttmp6, 15
	s_add_co_i32 s4, s4, 1
	s_getreg_b32 s6, hwreg(HW_REG_IB_STS2, 6, 4)
	s_mul_i32 s4, ttmp9, s4
	s_delay_alu instid0(SALU_CYCLE_1)
	s_add_co_i32 s5, s5, s4
	s_wait_kmcnt 0x0
	s_and_b32 s2, s2, 0xffff
	s_cmp_eq_u32 s6, 0
	s_mul_i32 s3, s3, s2
	s_cselect_b32 s4, ttmp9, s5
	s_abs_i32 s5, s3
	v_mad_u32 v0, s4, s2, v0
	s_cvt_f32_u32 s2, s5
	s_sub_co_i32 s4, 0, s5
	s_ashr_i32 s3, s3, 31
	s_delay_alu instid0(SALU_CYCLE_1) | instskip(NEXT) | instid1(VALU_DEP_1)
	v_rcp_iflag_f32_e32 v1, s2
	v_mul_lo_u32 v0, 0xd80, v0
	s_delay_alu instid0(TRANS32_DEP_1) | instskip(SKIP_1) | instid1(SALU_CYCLE_3)
	v_readfirstlane_b32 s2, v1
	s_mul_f32 s2, s2, 0x4f7ffffe
	s_cvt_u32_f32 s2, s2
	v_add_nc_u32_e32 v2, 0xd80, v0
	v_sub_nc_u32_e32 v3, 0xfffff280, v0
	v_sub_nc_u32_e32 v1, 0, v0
	s_mul_i32 s4, s4, s2
	s_delay_alu instid0(SALU_CYCLE_1) | instskip(NEXT) | instid1(VALU_DEP_2)
	s_mul_hi_u32 s4, s2, s4
	v_max_i32_e32 v3, v2, v3
	s_delay_alu instid0(VALU_DEP_2) | instskip(SKIP_2) | instid1(VALU_DEP_2)
	v_dual_ashrrev_i32 v0, 31, v0 :: v_dual_max_i32 v1, v0, v1
	s_add_co_i32 s2, s2, s4
	s_mov_b32 s4, 0
	v_mul_hi_u32 v5, v3, s2
	s_delay_alu instid0(VALU_DEP_2) | instskip(NEXT) | instid1(VALU_DEP_2)
	v_mul_hi_u32 v4, v1, s2
	v_mul_lo_u32 v7, v5, s5
	s_delay_alu instid0(VALU_DEP_2) | instskip(NEXT) | instid1(VALU_DEP_2)
	v_mul_lo_u32 v6, v4, s5
	v_dual_sub_nc_u32 v3, v3, v7 :: v_dual_bitop2_b32 v0, s3, v0 bitop3:0x14
	s_delay_alu instid0(VALU_DEP_2) | instskip(NEXT) | instid1(VALU_DEP_2)
	v_dual_sub_nc_u32 v1, v1, v6 :: v_dual_add_nc_u32 v6, 1, v4
	v_subrev_nc_u32_e32 v8, s5, v3
	s_delay_alu instid0(VALU_DEP_2) | instskip(SKIP_1) | instid1(VALU_DEP_4)
	v_cmp_le_u32_e32 vcc_lo, s5, v1
	v_cmp_le_u32_e64 s2, s5, v3
	v_cndmask_b32_e32 v4, v4, v6, vcc_lo
	v_subrev_nc_u32_e32 v6, s5, v1
	s_delay_alu instid0(VALU_DEP_1) | instskip(NEXT) | instid1(VALU_DEP_3)
	v_dual_cndmask_b32 v1, v1, v6, vcc_lo :: v_dual_add_nc_u32 v7, 1, v5
	v_dual_ashrrev_i32 v2, 31, v2 :: v_dual_add_nc_u32 v6, 1, v4
	s_delay_alu instid0(VALU_DEP_2) | instskip(NEXT) | instid1(VALU_DEP_3)
	v_cmp_le_u32_e32 vcc_lo, s5, v1
	v_dual_cndmask_b32 v5, v5, v7, s2 :: v_dual_cndmask_b32 v3, v3, v8, s2
	s_mov_b32 s2, exec_lo
	s_delay_alu instid0(VALU_DEP_1) | instskip(NEXT) | instid1(VALU_DEP_2)
	v_dual_cndmask_b32 v1, v4, v6, vcc_lo :: v_dual_add_nc_u32 v7, 1, v5
	v_cmp_le_u32_e32 vcc_lo, s5, v3
	v_xor_b32_e32 v2, s3, v2
	s_delay_alu instid0(VALU_DEP_3) | instskip(NEXT) | instid1(VALU_DEP_4)
	v_xor_b32_e32 v1, v1, v0
	v_cndmask_b32_e32 v3, v5, v7, vcc_lo
	s_delay_alu instid0(VALU_DEP_1) | instskip(NEXT) | instid1(VALU_DEP_1)
	v_dual_sub_nc_u32 v0, v1, v0 :: v_dual_bitop2_b32 v3, v3, v2 bitop3:0x14
	v_sub_nc_u32_e32 v1, v3, v2
	s_delay_alu instid0(VALU_DEP_1)
	v_cmpx_lt_i32_e64 v0, v1
	s_cbranch_execz .LBB18_3
; %bb.1:
	s_load_b128 s[0:3], s[0:1], 0x0
.LBB18_2:                               ; =>This Inner Loop Header: Depth=1
	v_mul_hi_i32 v2, 0x2aaaaaab, v0
	v_mul_hi_i32 v3, 0x38e38e39, v0
	s_delay_alu instid0(VALU_DEP_1) | instskip(NEXT) | instid1(VALU_DEP_1)
	v_dual_lshrrev_b32 v4, 31, v2 :: v_dual_lshrrev_b32 v5, 31, v3
	v_dual_add_nc_u32 v4, v2, v4 :: v_dual_ashrrev_i32 v2, 5, v3
	s_delay_alu instid0(VALU_DEP_1) | instskip(NEXT) | instid1(VALU_DEP_2)
	v_mul_hi_i32 v3, 0x2aaaaaab, v4
	v_add_nc_u32_e32 v5, v2, v5
	v_mad_u32 v7, v4, -6, v0
	s_delay_alu instid0(VALU_DEP_3) | instskip(NEXT) | instid1(VALU_DEP_3)
	v_dual_add_nc_u32 v0, 1, v0 :: v_dual_lshrrev_b32 v6, 31, v3
	v_mul_hi_i32 v2, 0x2aaaaaab, v5
	s_delay_alu instid0(VALU_DEP_1) | instskip(SKIP_1) | instid1(VALU_DEP_1)
	v_dual_lshrrev_b32 v3, 2, v3 :: v_dual_lshrrev_b32 v8, 31, v2
	v_lshrrev_b32_e32 v2, 2, v2
	v_dual_add_nc_u32 v3, v3, v6 :: v_dual_add_nc_u32 v8, v2, v8
	s_delay_alu instid0(VALU_DEP_1) | instskip(SKIP_2) | instid1(VALU_DEP_3)
	v_mul_lo_u32 v6, v3, 24
	s_wait_kmcnt 0x0
	v_mad_nc_i64_i32 v[2:3], 0x900, v7, s[2:3]
	v_mul_lo_u32 v8, v8, 24
	s_delay_alu instid0(VALU_DEP_3) | instskip(NEXT) | instid1(VALU_DEP_1)
	v_sub_nc_u32_e32 v4, v4, v6
	v_mad_nc_i64_i32 v[2:3], 0x60, v4, v[2:3]
	s_delay_alu instid0(VALU_DEP_3) | instskip(NEXT) | instid1(VALU_DEP_1)
	v_sub_nc_u32_e32 v4, v5, v8
	v_ashrrev_i32_e32 v5, 31, v4
	s_delay_alu instid0(VALU_DEP_1) | instskip(SKIP_4) | instid1(VALU_DEP_1)
	v_lshl_add_u64 v[2:3], v[4:5], 2, v[2:3]
	global_load_b32 v2, v[2:3], off
	s_wait_loadcnt 0x0
	s_wait_xcnt 0x0
	v_mul_f32_e32 v2, 0x3dcccccd, v2
	v_div_scale_f32 v3, null, 0x44100000, 0x44100000, v2
	v_div_scale_f32 v6, vcc_lo, v2, 0x44100000, v2
	s_delay_alu instid0(VALU_DEP_2) | instskip(SKIP_1) | instid1(TRANS32_DEP_1)
	v_rcp_f32_e32 v4, v3
	v_nop
	v_fma_f32 v5, -v3, v4, 1.0
	s_delay_alu instid0(VALU_DEP_1) | instskip(NEXT) | instid1(VALU_DEP_1)
	v_fmac_f32_e32 v4, v5, v4
	v_mul_f32_e32 v5, v6, v4
	s_delay_alu instid0(VALU_DEP_1) | instskip(NEXT) | instid1(VALU_DEP_1)
	v_fma_f32 v8, -v3, v5, v6
	v_fmac_f32_e32 v5, v8, v4
	s_delay_alu instid0(VALU_DEP_1) | instskip(NEXT) | instid1(VALU_DEP_1)
	v_fma_f32 v3, -v3, v5, v6
	v_div_fmas_f32 v3, v3, v4, v5
	v_cmp_ge_i32_e32 vcc_lo, v0, v1
	s_delay_alu instid0(VALU_DEP_2)
	v_div_fixup_f32 v2, v3, 0x44100000, v2
	s_or_b32 s4, vcc_lo, s4
	global_atomic_add_f32 v7, v2, s[0:1] scale_offset scope:SCOPE_DEV
	s_wait_xcnt 0x0
	s_and_not1_b32 exec_lo, exec_lo, s4
	s_cbranch_execnz .LBB18_2
.LBB18_3:
	s_endpgm
	.section	.rodata,"a",@progbits
	.p2align	6, 0x0
	.amdhsa_kernel _Z10bp_bias_c1PfPA24_A24_f
		.amdhsa_group_segment_fixed_size 0
		.amdhsa_private_segment_fixed_size 0
		.amdhsa_kernarg_size 272
		.amdhsa_user_sgpr_count 2
		.amdhsa_user_sgpr_dispatch_ptr 0
		.amdhsa_user_sgpr_queue_ptr 0
		.amdhsa_user_sgpr_kernarg_segment_ptr 1
		.amdhsa_user_sgpr_dispatch_id 0
		.amdhsa_user_sgpr_kernarg_preload_length 0
		.amdhsa_user_sgpr_kernarg_preload_offset 0
		.amdhsa_user_sgpr_private_segment_size 0
		.amdhsa_wavefront_size32 1
		.amdhsa_uses_dynamic_stack 0
		.amdhsa_enable_private_segment 0
		.amdhsa_system_sgpr_workgroup_id_x 1
		.amdhsa_system_sgpr_workgroup_id_y 0
		.amdhsa_system_sgpr_workgroup_id_z 0
		.amdhsa_system_sgpr_workgroup_info 0
		.amdhsa_system_vgpr_workitem_id 0
		.amdhsa_next_free_vgpr 9
		.amdhsa_next_free_sgpr 7
		.amdhsa_named_barrier_count 0
		.amdhsa_reserve_vcc 1
		.amdhsa_float_round_mode_32 0
		.amdhsa_float_round_mode_16_64 0
		.amdhsa_float_denorm_mode_32 3
		.amdhsa_float_denorm_mode_16_64 3
		.amdhsa_fp16_overflow 0
		.amdhsa_memory_ordered 1
		.amdhsa_forward_progress 1
		.amdhsa_inst_pref_size 7
		.amdhsa_round_robin_scheduling 0
		.amdhsa_exception_fp_ieee_invalid_op 0
		.amdhsa_exception_fp_denorm_src 0
		.amdhsa_exception_fp_ieee_div_zero 0
		.amdhsa_exception_fp_ieee_overflow 0
		.amdhsa_exception_fp_ieee_underflow 0
		.amdhsa_exception_fp_ieee_inexact 0
		.amdhsa_exception_int_div_zero 0
	.end_amdhsa_kernel
	.text
.Lfunc_end18:
	.size	_Z10bp_bias_c1PfPA24_A24_f, .Lfunc_end18-_Z10bp_bias_c1PfPA24_A24_f
                                        ; -- End function
	.set _Z10bp_bias_c1PfPA24_A24_f.num_vgpr, 9
	.set _Z10bp_bias_c1PfPA24_A24_f.num_agpr, 0
	.set _Z10bp_bias_c1PfPA24_A24_f.numbered_sgpr, 7
	.set _Z10bp_bias_c1PfPA24_A24_f.num_named_barrier, 0
	.set _Z10bp_bias_c1PfPA24_A24_f.private_seg_size, 0
	.set _Z10bp_bias_c1PfPA24_A24_f.uses_vcc, 1
	.set _Z10bp_bias_c1PfPA24_A24_f.uses_flat_scratch, 0
	.set _Z10bp_bias_c1PfPA24_A24_f.has_dyn_sized_stack, 0
	.set _Z10bp_bias_c1PfPA24_A24_f.has_recursion, 0
	.set _Z10bp_bias_c1PfPA24_A24_f.has_indirect_call, 0
	.section	.AMDGPU.csdata,"",@progbits
; Kernel info:
; codeLenInByte = 820
; TotalNumSgprs: 9
; NumVgprs: 9
; ScratchSize: 0
; MemoryBound: 0
; FloatMode: 240
; IeeeMode: 1
; LDSByteSize: 0 bytes/workgroup (compile time only)
; SGPRBlocks: 0
; VGPRBlocks: 0
; NumSGPRsForWavesPerEU: 9
; NumVGPRsForWavesPerEU: 9
; NamedBarCnt: 0
; Occupancy: 16
; WaveLimiterHint : 0
; COMPUTE_PGM_RSRC2:SCRATCH_EN: 0
; COMPUTE_PGM_RSRC2:USER_SGPR: 2
; COMPUTE_PGM_RSRC2:TRAP_HANDLER: 0
; COMPUTE_PGM_RSRC2:TGID_X_EN: 1
; COMPUTE_PGM_RSRC2:TGID_Y_EN: 0
; COMPUTE_PGM_RSRC2:TGID_Z_EN: 0
; COMPUTE_PGM_RSRC2:TIDIG_COMP_CNT: 0
	.text
	.p2alignl 7, 3214868480
	.fill 96, 4, 3214868480
	.section	.AMDGPU.gpr_maximums,"",@progbits
	.set amdgpu.max_num_vgpr, 0
	.set amdgpu.max_num_agpr, 0
	.set amdgpu.max_num_sgpr, 0
	.text
	.type	__hip_cuid_8baefc34f70277e8,@object ; @__hip_cuid_8baefc34f70277e8
	.section	.bss,"aw",@nobits
	.globl	__hip_cuid_8baefc34f70277e8
__hip_cuid_8baefc34f70277e8:
	.byte	0                               ; 0x0
	.size	__hip_cuid_8baefc34f70277e8, 1

	.ident	"AMD clang version 22.0.0git (https://github.com/RadeonOpenCompute/llvm-project roc-7.2.4 26084 f58b06dce1f9c15707c5f808fd002e18c2accf7e)"
	.section	".note.GNU-stack","",@progbits
	.addrsig
	.addrsig_sym __hip_cuid_8baefc34f70277e8
	.amdgpu_metadata
---
amdhsa.kernels:
  - .args:
      - .address_space:  global
        .offset:         0
        .size:           8
        .value_kind:     global_buffer
      - .address_space:  global
        .offset:         8
        .size:           8
        .value_kind:     global_buffer
      - .offset:         16
        .size:           4
        .value_kind:     by_value
      - .offset:         24
        .size:           4
        .value_kind:     hidden_block_count_x
      - .offset:         28
        .size:           4
        .value_kind:     hidden_block_count_y
      - .offset:         32
        .size:           4
        .value_kind:     hidden_block_count_z
      - .offset:         36
        .size:           2
        .value_kind:     hidden_group_size_x
      - .offset:         38
        .size:           2
        .value_kind:     hidden_group_size_y
      - .offset:         40
        .size:           2
        .value_kind:     hidden_group_size_z
      - .offset:         42
        .size:           2
        .value_kind:     hidden_remainder_x
      - .offset:         44
        .size:           2
        .value_kind:     hidden_remainder_y
      - .offset:         46
        .size:           2
        .value_kind:     hidden_remainder_z
      - .offset:         64
        .size:           8
        .value_kind:     hidden_global_offset_x
      - .offset:         72
        .size:           8
        .value_kind:     hidden_global_offset_y
      - .offset:         80
        .size:           8
        .value_kind:     hidden_global_offset_z
      - .offset:         88
        .size:           2
        .value_kind:     hidden_grid_dims
    .group_segment_fixed_size: 0
    .kernarg_segment_align: 8
    .kernarg_segment_size: 280
    .language:       OpenCL C
    .language_version:
      - 2
      - 0
    .max_flat_workgroup_size: 1024
    .name:           _Z19apply_step_functionPfS_i
    .private_segment_fixed_size: 0
    .sgpr_count:     10
    .sgpr_spill_count: 0
    .symbol:         _Z19apply_step_functionPfS_i.kd
    .uniform_work_group_size: 1
    .uses_dynamic_stack: false
    .vgpr_count:     12
    .vgpr_spill_count: 0
    .wavefront_size: 32
  - .args:
      - .address_space:  global
        .offset:         0
        .size:           8
        .value_kind:     global_buffer
      - .address_space:  global
        .offset:         8
        .size:           8
        .value_kind:     global_buffer
      - .offset:         16
        .size:           4
        .value_kind:     by_value
      - .offset:         20
        .size:           4
        .value_kind:     by_value
      - .offset:         24
        .size:           4
        .value_kind:     hidden_block_count_x
      - .offset:         28
        .size:           4
        .value_kind:     hidden_block_count_y
      - .offset:         32
        .size:           4
        .value_kind:     hidden_block_count_z
      - .offset:         36
        .size:           2
        .value_kind:     hidden_group_size_x
      - .offset:         38
        .size:           2
        .value_kind:     hidden_group_size_y
      - .offset:         40
        .size:           2
        .value_kind:     hidden_group_size_z
      - .offset:         42
        .size:           2
        .value_kind:     hidden_remainder_x
      - .offset:         44
        .size:           2
        .value_kind:     hidden_remainder_y
      - .offset:         46
        .size:           2
        .value_kind:     hidden_remainder_z
      - .offset:         64
        .size:           8
        .value_kind:     hidden_global_offset_x
      - .offset:         72
        .size:           8
        .value_kind:     hidden_global_offset_y
      - .offset:         80
        .size:           8
        .value_kind:     hidden_global_offset_z
      - .offset:         88
        .size:           2
        .value_kind:     hidden_grid_dims
    .group_segment_fixed_size: 0
    .kernarg_segment_align: 8
    .kernarg_segment_size: 280
    .language:       OpenCL C
    .language_version:
      - 2
      - 0
    .max_flat_workgroup_size: 1024
    .name:           _Z9makeErrorPfS_ji
    .private_segment_fixed_size: 0
    .sgpr_count:     14
    .sgpr_spill_count: 0
    .symbol:         _Z9makeErrorPfS_ji.kd
    .uniform_work_group_size: 1
    .uses_dynamic_stack: false
    .vgpr_count:     9
    .vgpr_spill_count: 0
    .wavefront_size: 32
  - .args:
      - .address_space:  global
        .offset:         0
        .size:           8
        .value_kind:     global_buffer
      - .address_space:  global
        .offset:         8
        .size:           8
        .value_kind:     global_buffer
      - .offset:         16
        .size:           4
        .value_kind:     by_value
      - .offset:         24
        .size:           4
        .value_kind:     hidden_block_count_x
      - .offset:         28
        .size:           4
        .value_kind:     hidden_block_count_y
      - .offset:         32
        .size:           4
        .value_kind:     hidden_block_count_z
      - .offset:         36
        .size:           2
        .value_kind:     hidden_group_size_x
      - .offset:         38
        .size:           2
        .value_kind:     hidden_group_size_y
      - .offset:         40
        .size:           2
        .value_kind:     hidden_group_size_z
      - .offset:         42
        .size:           2
        .value_kind:     hidden_remainder_x
      - .offset:         44
        .size:           2
        .value_kind:     hidden_remainder_y
      - .offset:         46
        .size:           2
        .value_kind:     hidden_remainder_z
      - .offset:         64
        .size:           8
        .value_kind:     hidden_global_offset_x
      - .offset:         72
        .size:           8
        .value_kind:     hidden_global_offset_y
      - .offset:         80
        .size:           8
        .value_kind:     hidden_global_offset_z
      - .offset:         88
        .size:           2
        .value_kind:     hidden_grid_dims
    .group_segment_fixed_size: 0
    .kernarg_segment_align: 8
    .kernarg_segment_size: 280
    .language:       OpenCL C
    .language_version:
      - 2
      - 0
    .max_flat_workgroup_size: 1024
    .name:           _Z10apply_gradPfS_i
    .private_segment_fixed_size: 0
    .sgpr_count:     10
    .sgpr_spill_count: 0
    .symbol:         _Z10apply_gradPfS_i.kd
    .uniform_work_group_size: 1
    .uses_dynamic_stack: false
    .vgpr_count:     9
    .vgpr_spill_count: 0
    .wavefront_size: 32
  - .args:
      - .address_space:  global
        .offset:         0
        .size:           8
        .value_kind:     global_buffer
      - .address_space:  global
        .offset:         8
        .size:           8
        .value_kind:     global_buffer
      - .address_space:  global
        .offset:         16
        .size:           8
        .value_kind:     global_buffer
      - .offset:         24
        .size:           4
        .value_kind:     hidden_block_count_x
      - .offset:         28
        .size:           4
        .value_kind:     hidden_block_count_y
      - .offset:         32
        .size:           4
        .value_kind:     hidden_block_count_z
      - .offset:         36
        .size:           2
        .value_kind:     hidden_group_size_x
      - .offset:         38
        .size:           2
        .value_kind:     hidden_group_size_y
      - .offset:         40
        .size:           2
        .value_kind:     hidden_group_size_z
      - .offset:         42
        .size:           2
        .value_kind:     hidden_remainder_x
      - .offset:         44
        .size:           2
        .value_kind:     hidden_remainder_y
      - .offset:         46
        .size:           2
        .value_kind:     hidden_remainder_z
      - .offset:         64
        .size:           8
        .value_kind:     hidden_global_offset_x
      - .offset:         72
        .size:           8
        .value_kind:     hidden_global_offset_y
      - .offset:         80
        .size:           8
        .value_kind:     hidden_global_offset_z
      - .offset:         88
        .size:           2
        .value_kind:     hidden_grid_dims
    .group_segment_fixed_size: 0
    .kernarg_segment_align: 8
    .kernarg_segment_size: 280
    .language:       OpenCL C
    .language_version:
      - 2
      - 0
    .max_flat_workgroup_size: 1024
    .name:           _Z12fp_preact_c1PA28_fPA24_A24_fPA5_A5_f
    .private_segment_fixed_size: 0
    .sgpr_count:     11
    .sgpr_spill_count: 0
    .symbol:         _Z12fp_preact_c1PA28_fPA24_A24_fPA5_A5_f.kd
    .uniform_work_group_size: 1
    .uses_dynamic_stack: false
    .vgpr_count:     15
    .vgpr_spill_count: 0
    .wavefront_size: 32
  - .args:
      - .address_space:  global
        .offset:         0
        .size:           8
        .value_kind:     global_buffer
      - .address_space:  global
        .offset:         8
        .size:           8
        .value_kind:     global_buffer
      - .offset:         16
        .size:           4
        .value_kind:     hidden_block_count_x
      - .offset:         20
        .size:           4
        .value_kind:     hidden_block_count_y
      - .offset:         24
        .size:           4
        .value_kind:     hidden_block_count_z
      - .offset:         28
        .size:           2
        .value_kind:     hidden_group_size_x
      - .offset:         30
        .size:           2
        .value_kind:     hidden_group_size_y
      - .offset:         32
        .size:           2
        .value_kind:     hidden_group_size_z
      - .offset:         34
        .size:           2
        .value_kind:     hidden_remainder_x
      - .offset:         36
        .size:           2
        .value_kind:     hidden_remainder_y
      - .offset:         38
        .size:           2
        .value_kind:     hidden_remainder_z
      - .offset:         56
        .size:           8
        .value_kind:     hidden_global_offset_x
      - .offset:         64
        .size:           8
        .value_kind:     hidden_global_offset_y
      - .offset:         72
        .size:           8
        .value_kind:     hidden_global_offset_z
      - .offset:         80
        .size:           2
        .value_kind:     hidden_grid_dims
    .group_segment_fixed_size: 0
    .kernarg_segment_align: 8
    .kernarg_segment_size: 272
    .language:       OpenCL C
    .language_version:
      - 2
      - 0
    .max_flat_workgroup_size: 1024
    .name:           _Z10fp_bias_c1PA24_A24_fPf
    .private_segment_fixed_size: 0
    .sgpr_count:     9
    .sgpr_spill_count: 0
    .symbol:         _Z10fp_bias_c1PA24_A24_fPf.kd
    .uniform_work_group_size: 1
    .uses_dynamic_stack: false
    .vgpr_count:     9
    .vgpr_spill_count: 0
    .wavefront_size: 32
  - .args:
      - .address_space:  global
        .offset:         0
        .size:           8
        .value_kind:     global_buffer
      - .address_space:  global
        .offset:         8
        .size:           8
        .value_kind:     global_buffer
      - .address_space:  global
        .offset:         16
        .size:           8
        .value_kind:     global_buffer
      - .offset:         24
        .size:           4
        .value_kind:     hidden_block_count_x
      - .offset:         28
        .size:           4
        .value_kind:     hidden_block_count_y
      - .offset:         32
        .size:           4
        .value_kind:     hidden_block_count_z
      - .offset:         36
        .size:           2
        .value_kind:     hidden_group_size_x
      - .offset:         38
        .size:           2
        .value_kind:     hidden_group_size_y
      - .offset:         40
        .size:           2
        .value_kind:     hidden_group_size_z
      - .offset:         42
        .size:           2
        .value_kind:     hidden_remainder_x
      - .offset:         44
        .size:           2
        .value_kind:     hidden_remainder_y
      - .offset:         46
        .size:           2
        .value_kind:     hidden_remainder_z
      - .offset:         64
        .size:           8
        .value_kind:     hidden_global_offset_x
      - .offset:         72
        .size:           8
        .value_kind:     hidden_global_offset_y
      - .offset:         80
        .size:           8
        .value_kind:     hidden_global_offset_z
      - .offset:         88
        .size:           2
        .value_kind:     hidden_grid_dims
    .group_segment_fixed_size: 0
    .kernarg_segment_align: 8
    .kernarg_segment_size: 280
    .language:       OpenCL C
    .language_version:
      - 2
      - 0
    .max_flat_workgroup_size: 1024
    .name:           _Z12fp_preact_s1PA24_A24_fPA6_A6_fPA4_A4_f
    .private_segment_fixed_size: 0
    .sgpr_count:     11
    .sgpr_spill_count: 0
    .symbol:         _Z12fp_preact_s1PA24_A24_fPA6_A6_fPA4_A4_f.kd
    .uniform_work_group_size: 1
    .uses_dynamic_stack: false
    .vgpr_count:     13
    .vgpr_spill_count: 0
    .wavefront_size: 32
  - .args:
      - .address_space:  global
        .offset:         0
        .size:           8
        .value_kind:     global_buffer
      - .address_space:  global
        .offset:         8
        .size:           8
        .value_kind:     global_buffer
      - .offset:         16
        .size:           4
        .value_kind:     hidden_block_count_x
      - .offset:         20
        .size:           4
        .value_kind:     hidden_block_count_y
      - .offset:         24
        .size:           4
        .value_kind:     hidden_block_count_z
      - .offset:         28
        .size:           2
        .value_kind:     hidden_group_size_x
      - .offset:         30
        .size:           2
        .value_kind:     hidden_group_size_y
      - .offset:         32
        .size:           2
        .value_kind:     hidden_group_size_z
      - .offset:         34
        .size:           2
        .value_kind:     hidden_remainder_x
      - .offset:         36
        .size:           2
        .value_kind:     hidden_remainder_y
      - .offset:         38
        .size:           2
        .value_kind:     hidden_remainder_z
      - .offset:         56
        .size:           8
        .value_kind:     hidden_global_offset_x
      - .offset:         64
        .size:           8
        .value_kind:     hidden_global_offset_y
      - .offset:         72
        .size:           8
        .value_kind:     hidden_global_offset_z
      - .offset:         80
        .size:           2
        .value_kind:     hidden_grid_dims
    .group_segment_fixed_size: 0
    .kernarg_segment_align: 8
    .kernarg_segment_size: 272
    .language:       OpenCL C
    .language_version:
      - 2
      - 0
    .max_flat_workgroup_size: 1024
    .name:           _Z10fp_bias_s1PA6_A6_fPf
    .private_segment_fixed_size: 0
    .sgpr_count:     9
    .sgpr_spill_count: 0
    .symbol:         _Z10fp_bias_s1PA6_A6_fPf.kd
    .uniform_work_group_size: 1
    .uses_dynamic_stack: false
    .vgpr_count:     10
    .vgpr_spill_count: 0
    .wavefront_size: 32
  - .args:
      - .address_space:  global
        .offset:         0
        .size:           8
        .value_kind:     global_buffer
      - .address_space:  global
        .offset:         8
        .size:           8
        .value_kind:     global_buffer
      - .address_space:  global
        .offset:         16
        .size:           8
        .value_kind:     global_buffer
      - .offset:         24
        .size:           4
        .value_kind:     hidden_block_count_x
      - .offset:         28
        .size:           4
        .value_kind:     hidden_block_count_y
      - .offset:         32
        .size:           4
        .value_kind:     hidden_block_count_z
      - .offset:         36
        .size:           2
        .value_kind:     hidden_group_size_x
      - .offset:         38
        .size:           2
        .value_kind:     hidden_group_size_y
      - .offset:         40
        .size:           2
        .value_kind:     hidden_group_size_z
      - .offset:         42
        .size:           2
        .value_kind:     hidden_remainder_x
      - .offset:         44
        .size:           2
        .value_kind:     hidden_remainder_y
      - .offset:         46
        .size:           2
        .value_kind:     hidden_remainder_z
      - .offset:         64
        .size:           8
        .value_kind:     hidden_global_offset_x
      - .offset:         72
        .size:           8
        .value_kind:     hidden_global_offset_y
      - .offset:         80
        .size:           8
        .value_kind:     hidden_global_offset_z
      - .offset:         88
        .size:           2
        .value_kind:     hidden_grid_dims
    .group_segment_fixed_size: 0
    .kernarg_segment_align: 8
    .kernarg_segment_size: 280
    .language:       OpenCL C
    .language_version:
      - 2
      - 0
    .max_flat_workgroup_size: 1024
    .name:           _Z11fp_preact_fPA6_A6_fPfPA6_S0_
    .private_segment_fixed_size: 0
    .sgpr_count:     11
    .sgpr_spill_count: 0
    .symbol:         _Z11fp_preact_fPA6_A6_fPfPA6_S0_.kd
    .uniform_work_group_size: 1
    .uses_dynamic_stack: false
    .vgpr_count:     13
    .vgpr_spill_count: 0
    .wavefront_size: 32
  - .args:
      - .address_space:  global
        .offset:         0
        .size:           8
        .value_kind:     global_buffer
      - .address_space:  global
        .offset:         8
        .size:           8
        .value_kind:     global_buffer
      - .offset:         16
        .size:           4
        .value_kind:     hidden_block_count_x
      - .offset:         20
        .size:           4
        .value_kind:     hidden_block_count_y
      - .offset:         24
        .size:           4
        .value_kind:     hidden_block_count_z
      - .offset:         28
        .size:           2
        .value_kind:     hidden_group_size_x
      - .offset:         30
        .size:           2
        .value_kind:     hidden_group_size_y
      - .offset:         32
        .size:           2
        .value_kind:     hidden_group_size_z
      - .offset:         34
        .size:           2
        .value_kind:     hidden_remainder_x
      - .offset:         36
        .size:           2
        .value_kind:     hidden_remainder_y
      - .offset:         38
        .size:           2
        .value_kind:     hidden_remainder_z
      - .offset:         56
        .size:           8
        .value_kind:     hidden_global_offset_x
      - .offset:         64
        .size:           8
        .value_kind:     hidden_global_offset_y
      - .offset:         72
        .size:           8
        .value_kind:     hidden_global_offset_z
      - .offset:         80
        .size:           2
        .value_kind:     hidden_grid_dims
    .group_segment_fixed_size: 0
    .kernarg_segment_align: 8
    .kernarg_segment_size: 272
    .language:       OpenCL C
    .language_version:
      - 2
      - 0
    .max_flat_workgroup_size: 1024
    .name:           _Z9fp_bias_fPfS_
    .private_segment_fixed_size: 0
    .sgpr_count:     10
    .sgpr_spill_count: 0
    .symbol:         _Z9fp_bias_fPfS_.kd
    .uniform_work_group_size: 1
    .uses_dynamic_stack: false
    .vgpr_count:     9
    .vgpr_spill_count: 0
    .wavefront_size: 32
  - .args:
      - .address_space:  global
        .offset:         0
        .size:           8
        .value_kind:     global_buffer
      - .address_space:  global
        .offset:         8
        .size:           8
        .value_kind:     global_buffer
      - .address_space:  global
        .offset:         16
        .size:           8
        .value_kind:     global_buffer
      - .offset:         24
        .size:           4
        .value_kind:     hidden_block_count_x
      - .offset:         28
        .size:           4
        .value_kind:     hidden_block_count_y
      - .offset:         32
        .size:           4
        .value_kind:     hidden_block_count_z
      - .offset:         36
        .size:           2
        .value_kind:     hidden_group_size_x
      - .offset:         38
        .size:           2
        .value_kind:     hidden_group_size_y
      - .offset:         40
        .size:           2
        .value_kind:     hidden_group_size_z
      - .offset:         42
        .size:           2
        .value_kind:     hidden_remainder_x
      - .offset:         44
        .size:           2
        .value_kind:     hidden_remainder_y
      - .offset:         46
        .size:           2
        .value_kind:     hidden_remainder_z
      - .offset:         64
        .size:           8
        .value_kind:     hidden_global_offset_x
      - .offset:         72
        .size:           8
        .value_kind:     hidden_global_offset_y
      - .offset:         80
        .size:           8
        .value_kind:     hidden_global_offset_z
      - .offset:         88
        .size:           2
        .value_kind:     hidden_grid_dims
    .group_segment_fixed_size: 0
    .kernarg_segment_align: 8
    .kernarg_segment_size: 280
    .language:       OpenCL C
    .language_version:
      - 2
      - 0
    .max_flat_workgroup_size: 1024
    .name:           _Z11bp_weight_fPA6_A6_A6_fPfPS0_
    .private_segment_fixed_size: 0
    .sgpr_count:     11
    .sgpr_spill_count: 0
    .symbol:         _Z11bp_weight_fPA6_A6_A6_fPfPS0_.kd
    .uniform_work_group_size: 1
    .uses_dynamic_stack: false
    .vgpr_count:     11
    .vgpr_spill_count: 0
    .wavefront_size: 32
  - .args:
      - .address_space:  global
        .offset:         0
        .size:           8
        .value_kind:     global_buffer
      - .address_space:  global
        .offset:         8
        .size:           8
        .value_kind:     global_buffer
      - .offset:         16
        .size:           4
        .value_kind:     hidden_block_count_x
      - .offset:         20
        .size:           4
        .value_kind:     hidden_block_count_y
      - .offset:         24
        .size:           4
        .value_kind:     hidden_block_count_z
      - .offset:         28
        .size:           2
        .value_kind:     hidden_group_size_x
      - .offset:         30
        .size:           2
        .value_kind:     hidden_group_size_y
      - .offset:         32
        .size:           2
        .value_kind:     hidden_group_size_z
      - .offset:         34
        .size:           2
        .value_kind:     hidden_remainder_x
      - .offset:         36
        .size:           2
        .value_kind:     hidden_remainder_y
      - .offset:         38
        .size:           2
        .value_kind:     hidden_remainder_z
      - .offset:         56
        .size:           8
        .value_kind:     hidden_global_offset_x
      - .offset:         64
        .size:           8
        .value_kind:     hidden_global_offset_y
      - .offset:         72
        .size:           8
        .value_kind:     hidden_global_offset_z
      - .offset:         80
        .size:           2
        .value_kind:     hidden_grid_dims
    .group_segment_fixed_size: 0
    .kernarg_segment_align: 8
    .kernarg_segment_size: 272
    .language:       OpenCL C
    .language_version:
      - 2
      - 0
    .max_flat_workgroup_size: 1024
    .name:           _Z9bp_bias_fPfS_
    .private_segment_fixed_size: 0
    .sgpr_count:     10
    .sgpr_spill_count: 0
    .symbol:         _Z9bp_bias_fPfS_.kd
    .uniform_work_group_size: 1
    .uses_dynamic_stack: false
    .vgpr_count:     9
    .vgpr_spill_count: 0
    .wavefront_size: 32
  - .args:
      - .address_space:  global
        .offset:         0
        .size:           8
        .value_kind:     global_buffer
      - .address_space:  global
        .offset:         8
        .size:           8
        .value_kind:     global_buffer
      - .address_space:  global
        .offset:         16
        .size:           8
        .value_kind:     global_buffer
      - .offset:         24
        .size:           4
        .value_kind:     hidden_block_count_x
      - .offset:         28
        .size:           4
        .value_kind:     hidden_block_count_y
      - .offset:         32
        .size:           4
        .value_kind:     hidden_block_count_z
      - .offset:         36
        .size:           2
        .value_kind:     hidden_group_size_x
      - .offset:         38
        .size:           2
        .value_kind:     hidden_group_size_y
      - .offset:         40
        .size:           2
        .value_kind:     hidden_group_size_z
      - .offset:         42
        .size:           2
        .value_kind:     hidden_remainder_x
      - .offset:         44
        .size:           2
        .value_kind:     hidden_remainder_y
      - .offset:         46
        .size:           2
        .value_kind:     hidden_remainder_z
      - .offset:         64
        .size:           8
        .value_kind:     hidden_global_offset_x
      - .offset:         72
        .size:           8
        .value_kind:     hidden_global_offset_y
      - .offset:         80
        .size:           8
        .value_kind:     hidden_global_offset_z
      - .offset:         88
        .size:           2
        .value_kind:     hidden_grid_dims
    .group_segment_fixed_size: 0
    .kernarg_segment_align: 8
    .kernarg_segment_size: 280
    .language:       OpenCL C
    .language_version:
      - 2
      - 0
    .max_flat_workgroup_size: 1024
    .name:           _Z12bp_output_s1PA6_A6_fPA6_S0_Pf
    .private_segment_fixed_size: 0
    .sgpr_count:     11
    .sgpr_spill_count: 0
    .symbol:         _Z12bp_output_s1PA6_A6_fPA6_S0_Pf.kd
    .uniform_work_group_size: 1
    .uses_dynamic_stack: false
    .vgpr_count:     13
    .vgpr_spill_count: 0
    .wavefront_size: 32
  - .args:
      - .address_space:  global
        .offset:         0
        .size:           8
        .value_kind:     global_buffer
      - .address_space:  global
        .offset:         8
        .size:           8
        .value_kind:     global_buffer
      - .address_space:  global
        .offset:         16
        .size:           8
        .value_kind:     global_buffer
      - .offset:         24
        .size:           4
        .value_kind:     hidden_block_count_x
      - .offset:         28
        .size:           4
        .value_kind:     hidden_block_count_y
      - .offset:         32
        .size:           4
        .value_kind:     hidden_block_count_z
      - .offset:         36
        .size:           2
        .value_kind:     hidden_group_size_x
      - .offset:         38
        .size:           2
        .value_kind:     hidden_group_size_y
      - .offset:         40
        .size:           2
        .value_kind:     hidden_group_size_z
      - .offset:         42
        .size:           2
        .value_kind:     hidden_remainder_x
      - .offset:         44
        .size:           2
        .value_kind:     hidden_remainder_y
      - .offset:         46
        .size:           2
        .value_kind:     hidden_remainder_z
      - .offset:         64
        .size:           8
        .value_kind:     hidden_global_offset_x
      - .offset:         72
        .size:           8
        .value_kind:     hidden_global_offset_y
      - .offset:         80
        .size:           8
        .value_kind:     hidden_global_offset_z
      - .offset:         88
        .size:           2
        .value_kind:     hidden_grid_dims
    .group_segment_fixed_size: 0
    .kernarg_segment_align: 8
    .kernarg_segment_size: 280
    .language:       OpenCL C
    .language_version:
      - 2
      - 0
    .max_flat_workgroup_size: 1024
    .name:           _Z12bp_preact_s1PA6_A6_fS1_S1_
    .private_segment_fixed_size: 0
    .sgpr_count:     11
    .sgpr_spill_count: 0
    .symbol:         _Z12bp_preact_s1PA6_A6_fS1_S1_.kd
    .uniform_work_group_size: 1
    .uses_dynamic_stack: false
    .vgpr_count:     15
    .vgpr_spill_count: 0
    .wavefront_size: 32
  - .args:
      - .address_space:  global
        .offset:         0
        .size:           8
        .value_kind:     global_buffer
      - .address_space:  global
        .offset:         8
        .size:           8
        .value_kind:     global_buffer
      - .address_space:  global
        .offset:         16
        .size:           8
        .value_kind:     global_buffer
      - .offset:         24
        .size:           4
        .value_kind:     hidden_block_count_x
      - .offset:         28
        .size:           4
        .value_kind:     hidden_block_count_y
      - .offset:         32
        .size:           4
        .value_kind:     hidden_block_count_z
      - .offset:         36
        .size:           2
        .value_kind:     hidden_group_size_x
      - .offset:         38
        .size:           2
        .value_kind:     hidden_group_size_y
      - .offset:         40
        .size:           2
        .value_kind:     hidden_group_size_z
      - .offset:         42
        .size:           2
        .value_kind:     hidden_remainder_x
      - .offset:         44
        .size:           2
        .value_kind:     hidden_remainder_y
      - .offset:         46
        .size:           2
        .value_kind:     hidden_remainder_z
      - .offset:         64
        .size:           8
        .value_kind:     hidden_global_offset_x
      - .offset:         72
        .size:           8
        .value_kind:     hidden_global_offset_y
      - .offset:         80
        .size:           8
        .value_kind:     hidden_global_offset_z
      - .offset:         88
        .size:           2
        .value_kind:     hidden_grid_dims
    .group_segment_fixed_size: 0
    .kernarg_segment_align: 8
    .kernarg_segment_size: 280
    .language:       OpenCL C
    .language_version:
      - 2
      - 0
    .max_flat_workgroup_size: 1024
    .name:           _Z12bp_weight_s1PA4_A4_fPA6_A6_fPA24_A24_f
    .private_segment_fixed_size: 0
    .sgpr_count:     11
    .sgpr_spill_count: 0
    .symbol:         _Z12bp_weight_s1PA4_A4_fPA6_A6_fPA24_A24_f.kd
    .uniform_work_group_size: 1
    .uses_dynamic_stack: false
    .vgpr_count:     14
    .vgpr_spill_count: 0
    .wavefront_size: 32
  - .args:
      - .address_space:  global
        .offset:         0
        .size:           8
        .value_kind:     global_buffer
      - .address_space:  global
        .offset:         8
        .size:           8
        .value_kind:     global_buffer
      - .offset:         16
        .size:           4
        .value_kind:     hidden_block_count_x
      - .offset:         20
        .size:           4
        .value_kind:     hidden_block_count_y
      - .offset:         24
        .size:           4
        .value_kind:     hidden_block_count_z
      - .offset:         28
        .size:           2
        .value_kind:     hidden_group_size_x
      - .offset:         30
        .size:           2
        .value_kind:     hidden_group_size_y
      - .offset:         32
        .size:           2
        .value_kind:     hidden_group_size_z
      - .offset:         34
        .size:           2
        .value_kind:     hidden_remainder_x
      - .offset:         36
        .size:           2
        .value_kind:     hidden_remainder_y
      - .offset:         38
        .size:           2
        .value_kind:     hidden_remainder_z
      - .offset:         56
        .size:           8
        .value_kind:     hidden_global_offset_x
      - .offset:         64
        .size:           8
        .value_kind:     hidden_global_offset_y
      - .offset:         72
        .size:           8
        .value_kind:     hidden_global_offset_z
      - .offset:         80
        .size:           2
        .value_kind:     hidden_grid_dims
    .group_segment_fixed_size: 0
    .kernarg_segment_align: 8
    .kernarg_segment_size: 272
    .language:       OpenCL C
    .language_version:
      - 2
      - 0
    .max_flat_workgroup_size: 1024
    .name:           _Z10bp_bias_s1PfPA6_A6_f
    .private_segment_fixed_size: 0
    .sgpr_count:     11
    .sgpr_spill_count: 0
    .symbol:         _Z10bp_bias_s1PfPA6_A6_f.kd
    .uniform_work_group_size: 1
    .uses_dynamic_stack: false
    .vgpr_count:     10
    .vgpr_spill_count: 0
    .wavefront_size: 32
  - .args:
      - .address_space:  global
        .offset:         0
        .size:           8
        .value_kind:     global_buffer
      - .address_space:  global
        .offset:         8
        .size:           8
        .value_kind:     global_buffer
      - .address_space:  global
        .offset:         16
        .size:           8
        .value_kind:     global_buffer
      - .offset:         24
        .size:           4
        .value_kind:     hidden_block_count_x
      - .offset:         28
        .size:           4
        .value_kind:     hidden_block_count_y
      - .offset:         32
        .size:           4
        .value_kind:     hidden_block_count_z
      - .offset:         36
        .size:           2
        .value_kind:     hidden_group_size_x
      - .offset:         38
        .size:           2
        .value_kind:     hidden_group_size_y
      - .offset:         40
        .size:           2
        .value_kind:     hidden_group_size_z
      - .offset:         42
        .size:           2
        .value_kind:     hidden_remainder_x
      - .offset:         44
        .size:           2
        .value_kind:     hidden_remainder_y
      - .offset:         46
        .size:           2
        .value_kind:     hidden_remainder_z
      - .offset:         64
        .size:           8
        .value_kind:     hidden_global_offset_x
      - .offset:         72
        .size:           8
        .value_kind:     hidden_global_offset_y
      - .offset:         80
        .size:           8
        .value_kind:     hidden_global_offset_z
      - .offset:         88
        .size:           2
        .value_kind:     hidden_grid_dims
    .group_segment_fixed_size: 0
    .kernarg_segment_align: 8
    .kernarg_segment_size: 280
    .language:       OpenCL C
    .language_version:
      - 2
      - 0
    .max_flat_workgroup_size: 1024
    .name:           _Z12bp_output_c1PA24_A24_fPA4_A4_fPA6_A6_f
    .private_segment_fixed_size: 0
    .sgpr_count:     11
    .sgpr_spill_count: 0
    .symbol:         _Z12bp_output_c1PA24_A24_fPA4_A4_fPA6_A6_f.kd
    .uniform_work_group_size: 1
    .uses_dynamic_stack: false
    .vgpr_count:     14
    .vgpr_spill_count: 0
    .wavefront_size: 32
  - .args:
      - .address_space:  global
        .offset:         0
        .size:           8
        .value_kind:     global_buffer
      - .address_space:  global
        .offset:         8
        .size:           8
        .value_kind:     global_buffer
      - .address_space:  global
        .offset:         16
        .size:           8
        .value_kind:     global_buffer
      - .offset:         24
        .size:           4
        .value_kind:     hidden_block_count_x
      - .offset:         28
        .size:           4
        .value_kind:     hidden_block_count_y
      - .offset:         32
        .size:           4
        .value_kind:     hidden_block_count_z
      - .offset:         36
        .size:           2
        .value_kind:     hidden_group_size_x
      - .offset:         38
        .size:           2
        .value_kind:     hidden_group_size_y
      - .offset:         40
        .size:           2
        .value_kind:     hidden_group_size_z
      - .offset:         42
        .size:           2
        .value_kind:     hidden_remainder_x
      - .offset:         44
        .size:           2
        .value_kind:     hidden_remainder_y
      - .offset:         46
        .size:           2
        .value_kind:     hidden_remainder_z
      - .offset:         64
        .size:           8
        .value_kind:     hidden_global_offset_x
      - .offset:         72
        .size:           8
        .value_kind:     hidden_global_offset_y
      - .offset:         80
        .size:           8
        .value_kind:     hidden_global_offset_z
      - .offset:         88
        .size:           2
        .value_kind:     hidden_grid_dims
    .group_segment_fixed_size: 0
    .kernarg_segment_align: 8
    .kernarg_segment_size: 280
    .language:       OpenCL C
    .language_version:
      - 2
      - 0
    .max_flat_workgroup_size: 1024
    .name:           _Z12bp_preact_c1PA24_A24_fS1_S1_
    .private_segment_fixed_size: 0
    .sgpr_count:     11
    .sgpr_spill_count: 0
    .symbol:         _Z12bp_preact_c1PA24_A24_fS1_S1_.kd
    .uniform_work_group_size: 1
    .uses_dynamic_stack: false
    .vgpr_count:     15
    .vgpr_spill_count: 0
    .wavefront_size: 32
  - .args:
      - .address_space:  global
        .offset:         0
        .size:           8
        .value_kind:     global_buffer
      - .address_space:  global
        .offset:         8
        .size:           8
        .value_kind:     global_buffer
      - .address_space:  global
        .offset:         16
        .size:           8
        .value_kind:     global_buffer
      - .offset:         24
        .size:           4
        .value_kind:     hidden_block_count_x
      - .offset:         28
        .size:           4
        .value_kind:     hidden_block_count_y
      - .offset:         32
        .size:           4
        .value_kind:     hidden_block_count_z
      - .offset:         36
        .size:           2
        .value_kind:     hidden_group_size_x
      - .offset:         38
        .size:           2
        .value_kind:     hidden_group_size_y
      - .offset:         40
        .size:           2
        .value_kind:     hidden_group_size_z
      - .offset:         42
        .size:           2
        .value_kind:     hidden_remainder_x
      - .offset:         44
        .size:           2
        .value_kind:     hidden_remainder_y
      - .offset:         46
        .size:           2
        .value_kind:     hidden_remainder_z
      - .offset:         64
        .size:           8
        .value_kind:     hidden_global_offset_x
      - .offset:         72
        .size:           8
        .value_kind:     hidden_global_offset_y
      - .offset:         80
        .size:           8
        .value_kind:     hidden_global_offset_z
      - .offset:         88
        .size:           2
        .value_kind:     hidden_grid_dims
    .group_segment_fixed_size: 0
    .kernarg_segment_align: 8
    .kernarg_segment_size: 280
    .language:       OpenCL C
    .language_version:
      - 2
      - 0
    .max_flat_workgroup_size: 1024
    .name:           _Z12bp_weight_c1PA5_A5_fPA24_A24_fPA28_f
    .private_segment_fixed_size: 0
    .sgpr_count:     11
    .sgpr_spill_count: 0
    .symbol:         _Z12bp_weight_c1PA5_A5_fPA24_A24_fPA28_f.kd
    .uniform_work_group_size: 1
    .uses_dynamic_stack: false
    .vgpr_count:     15
    .vgpr_spill_count: 0
    .wavefront_size: 32
  - .args:
      - .address_space:  global
        .offset:         0
        .size:           8
        .value_kind:     global_buffer
      - .address_space:  global
        .offset:         8
        .size:           8
        .value_kind:     global_buffer
      - .offset:         16
        .size:           4
        .value_kind:     hidden_block_count_x
      - .offset:         20
        .size:           4
        .value_kind:     hidden_block_count_y
      - .offset:         24
        .size:           4
        .value_kind:     hidden_block_count_z
      - .offset:         28
        .size:           2
        .value_kind:     hidden_group_size_x
      - .offset:         30
        .size:           2
        .value_kind:     hidden_group_size_y
      - .offset:         32
        .size:           2
        .value_kind:     hidden_group_size_z
      - .offset:         34
        .size:           2
        .value_kind:     hidden_remainder_x
      - .offset:         36
        .size:           2
        .value_kind:     hidden_remainder_y
      - .offset:         38
        .size:           2
        .value_kind:     hidden_remainder_z
      - .offset:         56
        .size:           8
        .value_kind:     hidden_global_offset_x
      - .offset:         64
        .size:           8
        .value_kind:     hidden_global_offset_y
      - .offset:         72
        .size:           8
        .value_kind:     hidden_global_offset_z
      - .offset:         80
        .size:           2
        .value_kind:     hidden_grid_dims
    .group_segment_fixed_size: 0
    .kernarg_segment_align: 8
    .kernarg_segment_size: 272
    .language:       OpenCL C
    .language_version:
      - 2
      - 0
    .max_flat_workgroup_size: 1024
    .name:           _Z10bp_bias_c1PfPA24_A24_f
    .private_segment_fixed_size: 0
    .sgpr_count:     9
    .sgpr_spill_count: 0
    .symbol:         _Z10bp_bias_c1PfPA24_A24_f.kd
    .uniform_work_group_size: 1
    .uses_dynamic_stack: false
    .vgpr_count:     9
    .vgpr_spill_count: 0
    .wavefront_size: 32
amdhsa.target:   amdgcn-amd-amdhsa--gfx1250
amdhsa.version:
  - 1
  - 2
...

	.end_amdgpu_metadata
